;; amdgpu-corpus repo=ROCm/rocSPARSE kind=compiled arch=gfx90a opt=O3
	.text
	.amdgcn_target "amdgcn-amd-amdhsa--gfx90a"
	.amdhsa_code_object_version 6
	.section	.text._ZN9rocsparseL29gebsrmm_small_blockdim_kernelILi1ELi2ELi2ELi16EfEEv20rocsparse_direction_20rocsparse_operation_iiNS_24const_host_device_scalarIT3_EEPKiS7_PKS4_iiS9_lS5_PS4_l21rocsparse_index_base_b,"axG",@progbits,_ZN9rocsparseL29gebsrmm_small_blockdim_kernelILi1ELi2ELi2ELi16EfEEv20rocsparse_direction_20rocsparse_operation_iiNS_24const_host_device_scalarIT3_EEPKiS7_PKS4_iiS9_lS5_PS4_l21rocsparse_index_base_b,comdat
	.globl	_ZN9rocsparseL29gebsrmm_small_blockdim_kernelILi1ELi2ELi2ELi16EfEEv20rocsparse_direction_20rocsparse_operation_iiNS_24const_host_device_scalarIT3_EEPKiS7_PKS4_iiS9_lS5_PS4_l21rocsparse_index_base_b ; -- Begin function _ZN9rocsparseL29gebsrmm_small_blockdim_kernelILi1ELi2ELi2ELi16EfEEv20rocsparse_direction_20rocsparse_operation_iiNS_24const_host_device_scalarIT3_EEPKiS7_PKS4_iiS9_lS5_PS4_l21rocsparse_index_base_b
	.p2align	8
	.type	_ZN9rocsparseL29gebsrmm_small_blockdim_kernelILi1ELi2ELi2ELi16EfEEv20rocsparse_direction_20rocsparse_operation_iiNS_24const_host_device_scalarIT3_EEPKiS7_PKS4_iiS9_lS5_PS4_l21rocsparse_index_base_b,@function
_ZN9rocsparseL29gebsrmm_small_blockdim_kernelILi1ELi2ELi2ELi16EfEEv20rocsparse_direction_20rocsparse_operation_iiNS_24const_host_device_scalarIT3_EEPKiS7_PKS4_iiS9_lS5_PS4_l21rocsparse_index_base_b: ; @_ZN9rocsparseL29gebsrmm_small_blockdim_kernelILi1ELi2ELi2ELi16EfEEv20rocsparse_direction_20rocsparse_operation_iiNS_24const_host_device_scalarIT3_EEPKiS7_PKS4_iiS9_lS5_PS4_l21rocsparse_index_base_b
; %bb.0:
	s_load_dwordx2 s[22:23], s[4:5], 0x60
	s_load_dwordx2 s[20:21], s[4:5], 0x10
	s_load_dwordx4 s[8:11], s[4:5], 0x40
	s_waitcnt lgkmcnt(0)
	s_bitcmp1_b32 s23, 0
	s_cselect_b64 s[2:3], -1, 0
	s_xor_b64 s[0:1], s[2:3], -1
	s_and_b64 vcc, exec, s[2:3]
	s_cbranch_vccnz .LBB0_2
; %bb.1:
	s_load_dword s20, s[20:21], 0x0
.LBB0_2:
	s_andn2_b64 vcc, exec, s[0:1]
	s_cbranch_vccnz .LBB0_4
; %bb.3:
	s_load_dword s10, s[10:11], 0x0
.LBB0_4:
	s_waitcnt lgkmcnt(0)
	v_cmp_eq_f32_e64 s[0:1], s20, 0
	v_cmp_eq_f32_e64 s[2:3], s10, 1.0
	s_and_b64 s[0:1], s[0:1], s[2:3]
	s_mov_b32 s28, 0
	s_and_b64 vcc, exec, s[0:1]
	s_cbranch_vccnz .LBB0_22
; %bb.5:
	s_load_dwordx4 s[16:19], s[4:5], 0x4
	s_mov_b32 s11, 0
	s_waitcnt lgkmcnt(0)
	s_cmp_lt_i32 s6, s17
	s_cselect_b64 s[26:27], -1, 0
	s_cmp_ge_i32 s6, s17
	s_cbranch_scc1 .LBB0_7
; %bb.6:
	s_load_dwordx2 s[2:3], s[4:5], 0x18
	s_mov_b32 s0, s7
	s_ashr_i32 s7, s6, 31
	s_lshl_b64 s[12:13], s[6:7], 2
	s_mov_b32 s7, s0
	s_waitcnt lgkmcnt(0)
	s_add_u32 s0, s2, s12
	s_addc_u32 s1, s3, s13
	s_load_dwordx2 s[0:1], s[0:1], 0x0
	s_waitcnt lgkmcnt(0)
	s_sub_i32 s28, s0, s22
	s_sub_i32 s11, s1, s22
.LBB0_7:
	s_load_dwordx2 s[24:25], s[4:5], 0x50
	v_bfe_u32 v2, v0, 10, 10
	v_and_b32_e32 v6, 0x3ff, v0
	v_lshl_add_u32 v0, s7, 4, v2
	v_ashrrev_i32_e32 v1, 31, v0
	v_cmp_gt_i32_e64 s[0:1], s18, v0
	v_cmp_eq_u32_e64 s[2:3], 0, v6
	s_cmp_ge_i32 s28, s11
	v_mov_b32_e32 v7, 0
	s_cbranch_scc1 .LBB0_18
; %bb.8:
	s_load_dwordx4 s[12:15], s[4:5], 0x20
	s_load_dwordx2 s[34:35], s[4:5], 0x38
	v_cmp_gt_u32_e32 vcc, 2, v6
	s_and_b64 s[18:19], vcc, s[0:1]
	v_cmp_gt_u32_e32 vcc, 2, v2
	v_lshlrev_b64 v[4:5], 2, v[0:1]
	s_and_b64 s[30:31], s[2:3], vcc
	s_waitcnt lgkmcnt(0)
	v_mov_b32_e32 v3, s35
	v_add_co_u32_e32 v8, vcc, s34, v4
	v_addc_co_u32_e32 v9, vcc, v3, v5, vcc
	v_mul_lo_u32 v7, v1, s8
	v_mul_lo_u32 v10, v0, s9
	v_mad_u64_u32 v[4:5], s[36:37], v0, s8, 0
	v_add3_u32 v5, v5, v10, v7
	s_cmpk_lg_i32 s16, 0x6f
	v_lshlrev_b64 v[4:5], 2, v[4:5]
	s_cselect_b64 s[16:17], -1, 0
	v_add_co_u32_e32 v4, vcc, s34, v4
	s_ashr_i32 s29, s28, 31
	v_lshlrev_b32_e32 v7, 1, v2
	v_addc_co_u32_e32 v3, vcc, v3, v5, vcc
	v_lshlrev_b32_e32 v5, 2, v6
	s_lshl_b64 s[34:35], s[28:29], 2
	v_add_lshl_u32 v10, v7, v6, 2
	v_add_co_u32_e32 v11, vcc, v4, v5
	s_add_u32 s12, s12, s34
	v_mov_b32_e32 v7, 0
	v_addc_co_u32_e32 v12, vcc, 0, v3, vcc
	v_add_u32_e32 v13, 0x80, v10
	v_add_u32_e32 v14, 0x80, v5
	v_lshlrev_b32_e32 v15, 3, v2
	s_addc_u32 s13, s13, s35
	v_lshl_add_u32 v2, s28, 1, v2
	s_branch .LBB0_10
.LBB0_9:                                ;   in Loop: Header=BB0_10 Depth=1
	s_or_b64 exec, exec, s[34:35]
	s_waitcnt lgkmcnt(0)
	; wave barrier
	s_waitcnt lgkmcnt(0)
	ds_read_b64 v[4:5], v15
	ds_read2_b32 v[16:17], v14 offset1:2
	s_add_i32 s28, s28, 1
	s_add_u32 s12, s12, 4
	s_addc_u32 s13, s13, 0
	s_cmp_ge_i32 s28, s11
	s_waitcnt lgkmcnt(0)
	v_fmac_f32_e32 v7, v16, v4
	v_fmac_f32_e32 v7, v17, v5
	v_add_u32_e32 v2, 2, v2
	s_waitcnt lgkmcnt(0)
	; wave barrier
	s_cbranch_scc1 .LBB0_18
.LBB0_10:                               ; =>This Inner Loop Header: Depth=1
	v_mov_b32_e32 v3, 0
	s_and_saveexec_b64 s[34:35], s[18:19]
	s_cbranch_execz .LBB0_16
; %bb.11:                               ;   in Loop: Header=BB0_10 Depth=1
	s_load_dword s7, s[12:13], 0x0
	s_and_b64 vcc, exec, s[16:17]
	s_waitcnt lgkmcnt(0)
	s_sub_i32 s7, s7, s22
	s_lshl_b32 s36, s7, 1
	s_cbranch_vccz .LBB0_13
; %bb.12:                               ;   in Loop: Header=BB0_10 Depth=1
	v_or_b32_e32 v3, s36, v6
	s_ashr_i32 s7, s36, 31
	v_mul_lo_u32 v16, v3, s9
	s_mul_i32 s7, s7, s8
	v_mad_u64_u32 v[4:5], s[38:39], v3, s8, 0
	v_add3_u32 v5, v5, v16, s7
	v_lshlrev_b64 v[4:5], 2, v[4:5]
	v_add_co_u32_e32 v4, vcc, v8, v4
	v_addc_co_u32_e32 v5, vcc, v9, v5, vcc
	s_cbranch_execz .LBB0_14
	s_branch .LBB0_15
.LBB0_13:                               ;   in Loop: Header=BB0_10 Depth=1
                                        ; implicit-def: $vgpr4_vgpr5
.LBB0_14:                               ;   in Loop: Header=BB0_10 Depth=1
	s_ashr_i32 s37, s36, 31
	s_lshl_b64 s[36:37], s[36:37], 2
	v_mov_b32_e32 v3, s37
	v_add_co_u32_e32 v4, vcc, s36, v11
	v_addc_co_u32_e32 v5, vcc, v12, v3, vcc
.LBB0_15:                               ;   in Loop: Header=BB0_10 Depth=1
	global_load_dword v3, v[4:5], off
.LBB0_16:                               ;   in Loop: Header=BB0_10 Depth=1
	s_or_b64 exec, exec, s[34:35]
	s_waitcnt vmcnt(0)
	ds_write_b32 v10, v3
	s_and_saveexec_b64 s[34:35], s[30:31]
	s_cbranch_execz .LBB0_9
; %bb.17:                               ;   in Loop: Header=BB0_10 Depth=1
	v_ashrrev_i32_e32 v3, 31, v2
	v_lshlrev_b64 v[4:5], 2, v[2:3]
	v_mov_b32_e32 v3, s15
	v_add_co_u32_e32 v4, vcc, s14, v4
	v_addc_co_u32_e32 v5, vcc, v3, v5, vcc
	global_load_dword v3, v[4:5], off
	s_waitcnt vmcnt(0)
	ds_write_b32 v13, v3
	s_branch .LBB0_9
.LBB0_18:
	s_and_b64 s[0:1], s[2:3], s[0:1]
	s_and_b64 s[0:1], s[26:27], s[0:1]
	s_and_saveexec_b64 s[2:3], s[0:1]
	s_cbranch_execz .LBB0_22
; %bb.19:
	s_load_dwordx2 s[0:1], s[4:5], 0x58
	v_add_u32_e32 v2, s6, v6
	s_waitcnt lgkmcnt(0)
	v_mul_lo_u32 v3, v1, s0
	v_mul_lo_u32 v4, v0, s1
	v_mad_u64_u32 v[0:1], s[0:1], v0, s0, 0
	v_add3_u32 v1, v1, v4, v3
	v_cmp_neq_f32_e64 s[0:1], s10, 0
	s_and_b64 vcc, exec, s[0:1]
	v_ashrrev_i32_e32 v3, 31, v2
	v_mul_f32_e32 v4, s20, v7
	v_lshlrev_b64 v[0:1], 2, v[0:1]
	s_cbranch_vccz .LBB0_23
; %bb.20:
	v_mov_b32_e32 v5, s25
	v_add_co_u32_e32 v8, vcc, s24, v0
	v_addc_co_u32_e32 v5, vcc, v5, v1, vcc
	v_lshlrev_b64 v[6:7], 2, v[2:3]
	v_add_co_u32_e32 v6, vcc, v8, v6
	v_addc_co_u32_e32 v7, vcc, v5, v7, vcc
	global_load_dword v5, v[6:7], off
	s_waitcnt vmcnt(0)
	v_fma_f32 v5, s10, v5, v4
	global_store_dword v[6:7], v5, off
	s_cbranch_execnz .LBB0_22
.LBB0_21:
	v_mov_b32_e32 v5, s25
	v_add_co_u32_e32 v6, vcc, s24, v0
	v_addc_co_u32_e32 v5, vcc, v5, v1, vcc
	v_lshlrev_b64 v[0:1], 2, v[2:3]
	v_add_co_u32_e32 v0, vcc, v6, v0
	v_addc_co_u32_e32 v1, vcc, v5, v1, vcc
	global_store_dword v[0:1], v4, off
.LBB0_22:
	s_endpgm
.LBB0_23:
	s_branch .LBB0_21
	.section	.rodata,"a",@progbits
	.p2align	6, 0x0
	.amdhsa_kernel _ZN9rocsparseL29gebsrmm_small_blockdim_kernelILi1ELi2ELi2ELi16EfEEv20rocsparse_direction_20rocsparse_operation_iiNS_24const_host_device_scalarIT3_EEPKiS7_PKS4_iiS9_lS5_PS4_l21rocsparse_index_base_b
		.amdhsa_group_segment_fixed_size 144
		.amdhsa_private_segment_fixed_size 0
		.amdhsa_kernarg_size 104
		.amdhsa_user_sgpr_count 6
		.amdhsa_user_sgpr_private_segment_buffer 1
		.amdhsa_user_sgpr_dispatch_ptr 0
		.amdhsa_user_sgpr_queue_ptr 0
		.amdhsa_user_sgpr_kernarg_segment_ptr 1
		.amdhsa_user_sgpr_dispatch_id 0
		.amdhsa_user_sgpr_flat_scratch_init 0
		.amdhsa_user_sgpr_kernarg_preload_length 0
		.amdhsa_user_sgpr_kernarg_preload_offset 0
		.amdhsa_user_sgpr_private_segment_size 0
		.amdhsa_uses_dynamic_stack 0
		.amdhsa_system_sgpr_private_segment_wavefront_offset 0
		.amdhsa_system_sgpr_workgroup_id_x 1
		.amdhsa_system_sgpr_workgroup_id_y 1
		.amdhsa_system_sgpr_workgroup_id_z 0
		.amdhsa_system_sgpr_workgroup_info 0
		.amdhsa_system_vgpr_workitem_id 1
		.amdhsa_next_free_vgpr 18
		.amdhsa_next_free_sgpr 40
		.amdhsa_accum_offset 20
		.amdhsa_reserve_vcc 1
		.amdhsa_reserve_flat_scratch 0
		.amdhsa_float_round_mode_32 0
		.amdhsa_float_round_mode_16_64 0
		.amdhsa_float_denorm_mode_32 3
		.amdhsa_float_denorm_mode_16_64 3
		.amdhsa_dx10_clamp 1
		.amdhsa_ieee_mode 1
		.amdhsa_fp16_overflow 0
		.amdhsa_tg_split 0
		.amdhsa_exception_fp_ieee_invalid_op 0
		.amdhsa_exception_fp_denorm_src 0
		.amdhsa_exception_fp_ieee_div_zero 0
		.amdhsa_exception_fp_ieee_overflow 0
		.amdhsa_exception_fp_ieee_underflow 0
		.amdhsa_exception_fp_ieee_inexact 0
		.amdhsa_exception_int_div_zero 0
	.end_amdhsa_kernel
	.section	.text._ZN9rocsparseL29gebsrmm_small_blockdim_kernelILi1ELi2ELi2ELi16EfEEv20rocsparse_direction_20rocsparse_operation_iiNS_24const_host_device_scalarIT3_EEPKiS7_PKS4_iiS9_lS5_PS4_l21rocsparse_index_base_b,"axG",@progbits,_ZN9rocsparseL29gebsrmm_small_blockdim_kernelILi1ELi2ELi2ELi16EfEEv20rocsparse_direction_20rocsparse_operation_iiNS_24const_host_device_scalarIT3_EEPKiS7_PKS4_iiS9_lS5_PS4_l21rocsparse_index_base_b,comdat
.Lfunc_end0:
	.size	_ZN9rocsparseL29gebsrmm_small_blockdim_kernelILi1ELi2ELi2ELi16EfEEv20rocsparse_direction_20rocsparse_operation_iiNS_24const_host_device_scalarIT3_EEPKiS7_PKS4_iiS9_lS5_PS4_l21rocsparse_index_base_b, .Lfunc_end0-_ZN9rocsparseL29gebsrmm_small_blockdim_kernelILi1ELi2ELi2ELi16EfEEv20rocsparse_direction_20rocsparse_operation_iiNS_24const_host_device_scalarIT3_EEPKiS7_PKS4_iiS9_lS5_PS4_l21rocsparse_index_base_b
                                        ; -- End function
	.section	.AMDGPU.csdata,"",@progbits
; Kernel info:
; codeLenInByte = 916
; NumSgprs: 44
; NumVgprs: 18
; NumAgprs: 0
; TotalNumVgprs: 18
; ScratchSize: 0
; MemoryBound: 0
; FloatMode: 240
; IeeeMode: 1
; LDSByteSize: 144 bytes/workgroup (compile time only)
; SGPRBlocks: 5
; VGPRBlocks: 2
; NumSGPRsForWavesPerEU: 44
; NumVGPRsForWavesPerEU: 18
; AccumOffset: 20
; Occupancy: 8
; WaveLimiterHint : 0
; COMPUTE_PGM_RSRC2:SCRATCH_EN: 0
; COMPUTE_PGM_RSRC2:USER_SGPR: 6
; COMPUTE_PGM_RSRC2:TRAP_HANDLER: 0
; COMPUTE_PGM_RSRC2:TGID_X_EN: 1
; COMPUTE_PGM_RSRC2:TGID_Y_EN: 1
; COMPUTE_PGM_RSRC2:TGID_Z_EN: 0
; COMPUTE_PGM_RSRC2:TIDIG_COMP_CNT: 1
; COMPUTE_PGM_RSRC3_GFX90A:ACCUM_OFFSET: 4
; COMPUTE_PGM_RSRC3_GFX90A:TG_SPLIT: 0
	.section	.text._ZN9rocsparseL29gebsrmm_small_blockdim_kernelILi1ELi3ELi3ELi16EfEEv20rocsparse_direction_20rocsparse_operation_iiNS_24const_host_device_scalarIT3_EEPKiS7_PKS4_iiS9_lS5_PS4_l21rocsparse_index_base_b,"axG",@progbits,_ZN9rocsparseL29gebsrmm_small_blockdim_kernelILi1ELi3ELi3ELi16EfEEv20rocsparse_direction_20rocsparse_operation_iiNS_24const_host_device_scalarIT3_EEPKiS7_PKS4_iiS9_lS5_PS4_l21rocsparse_index_base_b,comdat
	.globl	_ZN9rocsparseL29gebsrmm_small_blockdim_kernelILi1ELi3ELi3ELi16EfEEv20rocsparse_direction_20rocsparse_operation_iiNS_24const_host_device_scalarIT3_EEPKiS7_PKS4_iiS9_lS5_PS4_l21rocsparse_index_base_b ; -- Begin function _ZN9rocsparseL29gebsrmm_small_blockdim_kernelILi1ELi3ELi3ELi16EfEEv20rocsparse_direction_20rocsparse_operation_iiNS_24const_host_device_scalarIT3_EEPKiS7_PKS4_iiS9_lS5_PS4_l21rocsparse_index_base_b
	.p2align	8
	.type	_ZN9rocsparseL29gebsrmm_small_blockdim_kernelILi1ELi3ELi3ELi16EfEEv20rocsparse_direction_20rocsparse_operation_iiNS_24const_host_device_scalarIT3_EEPKiS7_PKS4_iiS9_lS5_PS4_l21rocsparse_index_base_b,@function
_ZN9rocsparseL29gebsrmm_small_blockdim_kernelILi1ELi3ELi3ELi16EfEEv20rocsparse_direction_20rocsparse_operation_iiNS_24const_host_device_scalarIT3_EEPKiS7_PKS4_iiS9_lS5_PS4_l21rocsparse_index_base_b: ; @_ZN9rocsparseL29gebsrmm_small_blockdim_kernelILi1ELi3ELi3ELi16EfEEv20rocsparse_direction_20rocsparse_operation_iiNS_24const_host_device_scalarIT3_EEPKiS7_PKS4_iiS9_lS5_PS4_l21rocsparse_index_base_b
; %bb.0:
	s_load_dwordx2 s[22:23], s[4:5], 0x60
	s_load_dwordx2 s[20:21], s[4:5], 0x10
	s_load_dwordx4 s[8:11], s[4:5], 0x40
	s_waitcnt lgkmcnt(0)
	s_bitcmp1_b32 s23, 0
	s_cselect_b64 s[2:3], -1, 0
	s_xor_b64 s[0:1], s[2:3], -1
	s_and_b64 vcc, exec, s[2:3]
	s_cbranch_vccnz .LBB1_2
; %bb.1:
	s_load_dword s20, s[20:21], 0x0
.LBB1_2:
	s_andn2_b64 vcc, exec, s[0:1]
	s_cbranch_vccnz .LBB1_4
; %bb.3:
	s_load_dword s10, s[10:11], 0x0
.LBB1_4:
	s_waitcnt lgkmcnt(0)
	v_cmp_eq_f32_e64 s[0:1], s20, 0
	v_cmp_eq_f32_e64 s[2:3], s10, 1.0
	s_and_b64 s[0:1], s[0:1], s[2:3]
	s_mov_b32 s28, 0
	s_and_b64 vcc, exec, s[0:1]
	s_cbranch_vccnz .LBB1_22
; %bb.5:
	s_load_dwordx4 s[16:19], s[4:5], 0x4
	s_mov_b32 s11, 0
	s_waitcnt lgkmcnt(0)
	s_cmp_lt_i32 s6, s17
	s_cselect_b64 s[26:27], -1, 0
	s_cmp_ge_i32 s6, s17
	s_cbranch_scc1 .LBB1_7
; %bb.6:
	s_load_dwordx2 s[2:3], s[4:5], 0x18
	s_mov_b32 s0, s7
	s_ashr_i32 s7, s6, 31
	s_lshl_b64 s[12:13], s[6:7], 2
	s_mov_b32 s7, s0
	s_waitcnt lgkmcnt(0)
	s_add_u32 s0, s2, s12
	s_addc_u32 s1, s3, s13
	s_load_dwordx2 s[0:1], s[0:1], 0x0
	s_waitcnt lgkmcnt(0)
	s_sub_i32 s28, s0, s22
	s_sub_i32 s11, s1, s22
.LBB1_7:
	s_load_dwordx2 s[24:25], s[4:5], 0x50
	v_bfe_u32 v2, v0, 10, 10
	v_and_b32_e32 v6, 0x3ff, v0
	v_lshl_add_u32 v0, s7, 4, v2
	v_ashrrev_i32_e32 v1, 31, v0
	v_cmp_gt_i32_e64 s[0:1], s18, v0
	v_cmp_eq_u32_e64 s[2:3], 0, v6
	s_cmp_ge_i32 s28, s11
	v_mov_b32_e32 v7, 0
	s_cbranch_scc1 .LBB1_18
; %bb.8:
	s_load_dwordx4 s[12:15], s[4:5], 0x20
	s_load_dwordx2 s[34:35], s[4:5], 0x38
	v_cmp_gt_u32_e32 vcc, 3, v6
	s_and_b64 s[18:19], vcc, s[0:1]
	v_cmp_gt_u32_e32 vcc, 3, v2
	v_lshlrev_b64 v[4:5], 2, v[0:1]
	s_and_b64 s[30:31], s[2:3], vcc
	s_waitcnt lgkmcnt(0)
	v_mov_b32_e32 v3, s35
	v_add_co_u32_e32 v8, vcc, s34, v4
	v_addc_co_u32_e32 v9, vcc, v3, v5, vcc
	v_mul_lo_u32 v7, v1, s8
	v_mul_lo_u32 v10, v0, s9
	v_mad_u64_u32 v[4:5], s[36:37], v0, s8, 0
	v_add3_u32 v5, v5, v10, v7
	s_cmpk_lg_i32 s16, 0x6f
	v_lshlrev_b64 v[4:5], 2, v[4:5]
	s_cselect_b64 s[16:17], -1, 0
	v_add_co_u32_e32 v4, vcc, s34, v4
	s_ashr_i32 s29, s28, 31
	v_mul_u32_u24_e32 v15, 3, v2
	v_addc_co_u32_e32 v3, vcc, v3, v5, vcc
	v_lshlrev_b32_e32 v5, 2, v6
	s_lshl_b64 s[34:35], s[28:29], 2
	v_add_lshl_u32 v10, v15, v6, 2
	v_add_co_u32_e32 v11, vcc, v4, v5
	s_add_u32 s12, s12, s34
	v_mov_b32_e32 v7, 0
	v_addc_co_u32_e32 v12, vcc, 0, v3, vcc
	v_add_u32_e32 v13, 0xc0, v10
	v_add_u32_e32 v14, 0xc0, v5
	v_lshlrev_b32_e32 v15, 2, v15
	s_addc_u32 s13, s13, s35
	v_mad_u64_u32 v[2:3], s[34:35], s28, 3, v[2:3]
	s_branch .LBB1_10
.LBB1_9:                                ;   in Loop: Header=BB1_10 Depth=1
	s_or_b64 exec, exec, s[34:35]
	s_waitcnt lgkmcnt(0)
	; wave barrier
	s_waitcnt lgkmcnt(0)
	ds_read2_b32 v[4:5], v14 offset1:3
	ds_read2_b32 v[16:17], v15 offset1:1
	ds_read_b32 v3, v15 offset:8
	ds_read_b32 v18, v14 offset:24
	s_add_i32 s28, s28, 1
	s_add_u32 s12, s12, 4
	s_waitcnt lgkmcnt(2)
	v_fmac_f32_e32 v7, v4, v16
	v_fmac_f32_e32 v7, v5, v17
	s_addc_u32 s13, s13, 0
	s_waitcnt lgkmcnt(0)
	v_fmac_f32_e32 v7, v18, v3
	s_cmp_ge_i32 s28, s11
	v_add_u32_e32 v2, 3, v2
	s_waitcnt lgkmcnt(0)
	; wave barrier
	s_cbranch_scc1 .LBB1_18
.LBB1_10:                               ; =>This Inner Loop Header: Depth=1
	v_mov_b32_e32 v3, 0
	s_and_saveexec_b64 s[34:35], s[18:19]
	s_cbranch_execz .LBB1_16
; %bb.11:                               ;   in Loop: Header=BB1_10 Depth=1
	s_load_dword s7, s[12:13], 0x0
	s_and_b64 vcc, exec, s[16:17]
	s_waitcnt lgkmcnt(0)
	s_sub_i32 s7, s7, s22
	s_mul_i32 s36, s7, 3
	s_cbranch_vccz .LBB1_13
; %bb.12:                               ;   in Loop: Header=BB1_10 Depth=1
	v_add_u32_e32 v3, s36, v6
	v_ashrrev_i32_e32 v4, 31, v3
	v_mul_lo_u32 v16, v4, s8
	v_mul_lo_u32 v17, v3, s9
	v_mad_u64_u32 v[4:5], s[38:39], v3, s8, 0
	v_add3_u32 v5, v5, v17, v16
	v_lshlrev_b64 v[4:5], 2, v[4:5]
	v_add_co_u32_e32 v4, vcc, v8, v4
	v_addc_co_u32_e32 v5, vcc, v9, v5, vcc
	s_cbranch_execz .LBB1_14
	s_branch .LBB1_15
.LBB1_13:                               ;   in Loop: Header=BB1_10 Depth=1
                                        ; implicit-def: $vgpr4_vgpr5
.LBB1_14:                               ;   in Loop: Header=BB1_10 Depth=1
	s_ashr_i32 s37, s36, 31
	s_lshl_b64 s[36:37], s[36:37], 2
	v_mov_b32_e32 v3, s37
	v_add_co_u32_e32 v4, vcc, s36, v11
	v_addc_co_u32_e32 v5, vcc, v12, v3, vcc
.LBB1_15:                               ;   in Loop: Header=BB1_10 Depth=1
	global_load_dword v3, v[4:5], off
.LBB1_16:                               ;   in Loop: Header=BB1_10 Depth=1
	s_or_b64 exec, exec, s[34:35]
	s_waitcnt vmcnt(0)
	ds_write_b32 v10, v3
	s_and_saveexec_b64 s[34:35], s[30:31]
	s_cbranch_execz .LBB1_9
; %bb.17:                               ;   in Loop: Header=BB1_10 Depth=1
	v_ashrrev_i32_e32 v3, 31, v2
	v_lshlrev_b64 v[4:5], 2, v[2:3]
	v_mov_b32_e32 v3, s15
	v_add_co_u32_e32 v4, vcc, s14, v4
	v_addc_co_u32_e32 v5, vcc, v3, v5, vcc
	global_load_dword v3, v[4:5], off
	s_waitcnt vmcnt(0)
	ds_write_b32 v13, v3
	s_branch .LBB1_9
.LBB1_18:
	s_and_b64 s[0:1], s[2:3], s[0:1]
	s_and_b64 s[0:1], s[26:27], s[0:1]
	s_and_saveexec_b64 s[2:3], s[0:1]
	s_cbranch_execz .LBB1_22
; %bb.19:
	s_load_dwordx2 s[0:1], s[4:5], 0x58
	v_add_u32_e32 v2, s6, v6
	s_waitcnt lgkmcnt(0)
	v_mul_lo_u32 v3, v1, s0
	v_mul_lo_u32 v4, v0, s1
	v_mad_u64_u32 v[0:1], s[0:1], v0, s0, 0
	v_add3_u32 v1, v1, v4, v3
	v_cmp_neq_f32_e64 s[0:1], s10, 0
	s_and_b64 vcc, exec, s[0:1]
	v_ashrrev_i32_e32 v3, 31, v2
	v_mul_f32_e32 v4, s20, v7
	v_lshlrev_b64 v[0:1], 2, v[0:1]
	s_cbranch_vccz .LBB1_23
; %bb.20:
	v_mov_b32_e32 v5, s25
	v_add_co_u32_e32 v8, vcc, s24, v0
	v_addc_co_u32_e32 v5, vcc, v5, v1, vcc
	v_lshlrev_b64 v[6:7], 2, v[2:3]
	v_add_co_u32_e32 v6, vcc, v8, v6
	v_addc_co_u32_e32 v7, vcc, v5, v7, vcc
	global_load_dword v5, v[6:7], off
	s_waitcnt vmcnt(0)
	v_fma_f32 v5, s10, v5, v4
	global_store_dword v[6:7], v5, off
	s_cbranch_execnz .LBB1_22
.LBB1_21:
	v_mov_b32_e32 v5, s25
	v_add_co_u32_e32 v6, vcc, s24, v0
	v_addc_co_u32_e32 v5, vcc, v5, v1, vcc
	v_lshlrev_b64 v[0:1], 2, v[2:3]
	v_add_co_u32_e32 v0, vcc, v6, v0
	v_addc_co_u32_e32 v1, vcc, v5, v1, vcc
	global_store_dword v[0:1], v4, off
.LBB1_22:
	s_endpgm
.LBB1_23:
	s_branch .LBB1_21
	.section	.rodata,"a",@progbits
	.p2align	6, 0x0
	.amdhsa_kernel _ZN9rocsparseL29gebsrmm_small_blockdim_kernelILi1ELi3ELi3ELi16EfEEv20rocsparse_direction_20rocsparse_operation_iiNS_24const_host_device_scalarIT3_EEPKiS7_PKS4_iiS9_lS5_PS4_l21rocsparse_index_base_b
		.amdhsa_group_segment_fixed_size 228
		.amdhsa_private_segment_fixed_size 0
		.amdhsa_kernarg_size 104
		.amdhsa_user_sgpr_count 6
		.amdhsa_user_sgpr_private_segment_buffer 1
		.amdhsa_user_sgpr_dispatch_ptr 0
		.amdhsa_user_sgpr_queue_ptr 0
		.amdhsa_user_sgpr_kernarg_segment_ptr 1
		.amdhsa_user_sgpr_dispatch_id 0
		.amdhsa_user_sgpr_flat_scratch_init 0
		.amdhsa_user_sgpr_kernarg_preload_length 0
		.amdhsa_user_sgpr_kernarg_preload_offset 0
		.amdhsa_user_sgpr_private_segment_size 0
		.amdhsa_uses_dynamic_stack 0
		.amdhsa_system_sgpr_private_segment_wavefront_offset 0
		.amdhsa_system_sgpr_workgroup_id_x 1
		.amdhsa_system_sgpr_workgroup_id_y 1
		.amdhsa_system_sgpr_workgroup_id_z 0
		.amdhsa_system_sgpr_workgroup_info 0
		.amdhsa_system_vgpr_workitem_id 1
		.amdhsa_next_free_vgpr 19
		.amdhsa_next_free_sgpr 40
		.amdhsa_accum_offset 20
		.amdhsa_reserve_vcc 1
		.amdhsa_reserve_flat_scratch 0
		.amdhsa_float_round_mode_32 0
		.amdhsa_float_round_mode_16_64 0
		.amdhsa_float_denorm_mode_32 3
		.amdhsa_float_denorm_mode_16_64 3
		.amdhsa_dx10_clamp 1
		.amdhsa_ieee_mode 1
		.amdhsa_fp16_overflow 0
		.amdhsa_tg_split 0
		.amdhsa_exception_fp_ieee_invalid_op 0
		.amdhsa_exception_fp_denorm_src 0
		.amdhsa_exception_fp_ieee_div_zero 0
		.amdhsa_exception_fp_ieee_overflow 0
		.amdhsa_exception_fp_ieee_underflow 0
		.amdhsa_exception_fp_ieee_inexact 0
		.amdhsa_exception_int_div_zero 0
	.end_amdhsa_kernel
	.section	.text._ZN9rocsparseL29gebsrmm_small_blockdim_kernelILi1ELi3ELi3ELi16EfEEv20rocsparse_direction_20rocsparse_operation_iiNS_24const_host_device_scalarIT3_EEPKiS7_PKS4_iiS9_lS5_PS4_l21rocsparse_index_base_b,"axG",@progbits,_ZN9rocsparseL29gebsrmm_small_blockdim_kernelILi1ELi3ELi3ELi16EfEEv20rocsparse_direction_20rocsparse_operation_iiNS_24const_host_device_scalarIT3_EEPKiS7_PKS4_iiS9_lS5_PS4_l21rocsparse_index_base_b,comdat
.Lfunc_end1:
	.size	_ZN9rocsparseL29gebsrmm_small_blockdim_kernelILi1ELi3ELi3ELi16EfEEv20rocsparse_direction_20rocsparse_operation_iiNS_24const_host_device_scalarIT3_EEPKiS7_PKS4_iiS9_lS5_PS4_l21rocsparse_index_base_b, .Lfunc_end1-_ZN9rocsparseL29gebsrmm_small_blockdim_kernelILi1ELi3ELi3ELi16EfEEv20rocsparse_direction_20rocsparse_operation_iiNS_24const_host_device_scalarIT3_EEPKiS7_PKS4_iiS9_lS5_PS4_l21rocsparse_index_base_b
                                        ; -- End function
	.section	.AMDGPU.csdata,"",@progbits
; Kernel info:
; codeLenInByte = 944
; NumSgprs: 44
; NumVgprs: 19
; NumAgprs: 0
; TotalNumVgprs: 19
; ScratchSize: 0
; MemoryBound: 0
; FloatMode: 240
; IeeeMode: 1
; LDSByteSize: 228 bytes/workgroup (compile time only)
; SGPRBlocks: 5
; VGPRBlocks: 2
; NumSGPRsForWavesPerEU: 44
; NumVGPRsForWavesPerEU: 19
; AccumOffset: 20
; Occupancy: 8
; WaveLimiterHint : 0
; COMPUTE_PGM_RSRC2:SCRATCH_EN: 0
; COMPUTE_PGM_RSRC2:USER_SGPR: 6
; COMPUTE_PGM_RSRC2:TRAP_HANDLER: 0
; COMPUTE_PGM_RSRC2:TGID_X_EN: 1
; COMPUTE_PGM_RSRC2:TGID_Y_EN: 1
; COMPUTE_PGM_RSRC2:TGID_Z_EN: 0
; COMPUTE_PGM_RSRC2:TIDIG_COMP_CNT: 1
; COMPUTE_PGM_RSRC3_GFX90A:ACCUM_OFFSET: 4
; COMPUTE_PGM_RSRC3_GFX90A:TG_SPLIT: 0
	.section	.text._ZN9rocsparseL29gebsrmm_small_blockdim_kernelILi1ELi4ELi4ELi16EfEEv20rocsparse_direction_20rocsparse_operation_iiNS_24const_host_device_scalarIT3_EEPKiS7_PKS4_iiS9_lS5_PS4_l21rocsparse_index_base_b,"axG",@progbits,_ZN9rocsparseL29gebsrmm_small_blockdim_kernelILi1ELi4ELi4ELi16EfEEv20rocsparse_direction_20rocsparse_operation_iiNS_24const_host_device_scalarIT3_EEPKiS7_PKS4_iiS9_lS5_PS4_l21rocsparse_index_base_b,comdat
	.globl	_ZN9rocsparseL29gebsrmm_small_blockdim_kernelILi1ELi4ELi4ELi16EfEEv20rocsparse_direction_20rocsparse_operation_iiNS_24const_host_device_scalarIT3_EEPKiS7_PKS4_iiS9_lS5_PS4_l21rocsparse_index_base_b ; -- Begin function _ZN9rocsparseL29gebsrmm_small_blockdim_kernelILi1ELi4ELi4ELi16EfEEv20rocsparse_direction_20rocsparse_operation_iiNS_24const_host_device_scalarIT3_EEPKiS7_PKS4_iiS9_lS5_PS4_l21rocsparse_index_base_b
	.p2align	8
	.type	_ZN9rocsparseL29gebsrmm_small_blockdim_kernelILi1ELi4ELi4ELi16EfEEv20rocsparse_direction_20rocsparse_operation_iiNS_24const_host_device_scalarIT3_EEPKiS7_PKS4_iiS9_lS5_PS4_l21rocsparse_index_base_b,@function
_ZN9rocsparseL29gebsrmm_small_blockdim_kernelILi1ELi4ELi4ELi16EfEEv20rocsparse_direction_20rocsparse_operation_iiNS_24const_host_device_scalarIT3_EEPKiS7_PKS4_iiS9_lS5_PS4_l21rocsparse_index_base_b: ; @_ZN9rocsparseL29gebsrmm_small_blockdim_kernelILi1ELi4ELi4ELi16EfEEv20rocsparse_direction_20rocsparse_operation_iiNS_24const_host_device_scalarIT3_EEPKiS7_PKS4_iiS9_lS5_PS4_l21rocsparse_index_base_b
; %bb.0:
	s_load_dwordx2 s[22:23], s[4:5], 0x60
	s_load_dwordx2 s[20:21], s[4:5], 0x10
	s_load_dwordx4 s[8:11], s[4:5], 0x40
	s_waitcnt lgkmcnt(0)
	s_bitcmp1_b32 s23, 0
	s_cselect_b64 s[2:3], -1, 0
	s_xor_b64 s[0:1], s[2:3], -1
	s_and_b64 vcc, exec, s[2:3]
	s_cbranch_vccnz .LBB2_2
; %bb.1:
	s_load_dword s20, s[20:21], 0x0
.LBB2_2:
	s_andn2_b64 vcc, exec, s[0:1]
	s_cbranch_vccnz .LBB2_4
; %bb.3:
	s_load_dword s10, s[10:11], 0x0
.LBB2_4:
	s_waitcnt lgkmcnt(0)
	v_cmp_eq_f32_e64 s[0:1], s20, 0
	v_cmp_eq_f32_e64 s[2:3], s10, 1.0
	s_and_b64 s[0:1], s[0:1], s[2:3]
	s_mov_b32 s28, 0
	s_and_b64 vcc, exec, s[0:1]
	s_cbranch_vccnz .LBB2_22
; %bb.5:
	s_load_dwordx4 s[16:19], s[4:5], 0x4
	s_mov_b32 s11, 0
	s_waitcnt lgkmcnt(0)
	s_cmp_lt_i32 s6, s17
	s_cselect_b64 s[26:27], -1, 0
	s_cmp_ge_i32 s6, s17
	s_cbranch_scc1 .LBB2_7
; %bb.6:
	s_load_dwordx2 s[2:3], s[4:5], 0x18
	s_mov_b32 s0, s7
	s_ashr_i32 s7, s6, 31
	s_lshl_b64 s[12:13], s[6:7], 2
	s_mov_b32 s7, s0
	s_waitcnt lgkmcnt(0)
	s_add_u32 s0, s2, s12
	s_addc_u32 s1, s3, s13
	s_load_dwordx2 s[0:1], s[0:1], 0x0
	s_waitcnt lgkmcnt(0)
	s_sub_i32 s28, s0, s22
	s_sub_i32 s11, s1, s22
.LBB2_7:
	s_load_dwordx2 s[24:25], s[4:5], 0x50
	v_bfe_u32 v2, v0, 10, 10
	v_and_b32_e32 v6, 0x3ff, v0
	v_lshl_add_u32 v0, s7, 4, v2
	v_ashrrev_i32_e32 v1, 31, v0
	v_cmp_gt_i32_e64 s[0:1], s18, v0
	v_cmp_eq_u32_e64 s[2:3], 0, v6
	s_cmp_ge_i32 s28, s11
	v_mov_b32_e32 v7, 0
	s_cbranch_scc1 .LBB2_18
; %bb.8:
	s_load_dwordx4 s[12:15], s[4:5], 0x20
	s_load_dwordx2 s[34:35], s[4:5], 0x38
	v_cmp_gt_u32_e32 vcc, 4, v6
	s_and_b64 s[18:19], vcc, s[0:1]
	v_cmp_gt_u32_e32 vcc, 4, v2
	v_lshlrev_b64 v[4:5], 2, v[0:1]
	s_and_b64 s[30:31], s[2:3], vcc
	s_waitcnt lgkmcnt(0)
	v_mov_b32_e32 v3, s35
	v_add_co_u32_e32 v8, vcc, s34, v4
	v_addc_co_u32_e32 v9, vcc, v3, v5, vcc
	v_mul_lo_u32 v7, v1, s8
	v_mul_lo_u32 v10, v0, s9
	v_mad_u64_u32 v[4:5], s[36:37], v0, s8, 0
	v_add3_u32 v5, v5, v10, v7
	s_cmpk_lg_i32 s16, 0x6f
	v_lshlrev_b64 v[4:5], 2, v[4:5]
	s_cselect_b64 s[16:17], -1, 0
	v_add_co_u32_e32 v4, vcc, s34, v4
	s_ashr_i32 s29, s28, 31
	v_lshlrev_b32_e32 v7, 2, v2
	v_addc_co_u32_e32 v3, vcc, v3, v5, vcc
	v_lshlrev_b32_e32 v5, 2, v6
	s_lshl_b64 s[34:35], s[28:29], 2
	v_add_lshl_u32 v10, v7, v6, 2
	v_add_co_u32_e32 v11, vcc, v4, v5
	s_add_u32 s12, s12, s34
	v_mov_b32_e32 v7, 0
	v_addc_co_u32_e32 v12, vcc, 0, v3, vcc
	v_add_u32_e32 v13, 0x100, v10
	v_add_u32_e32 v14, 0x100, v5
	v_lshlrev_b32_e32 v15, 4, v2
	s_addc_u32 s13, s13, s35
	v_lshl_add_u32 v2, s28, 2, v2
	s_branch .LBB2_10
.LBB2_9:                                ;   in Loop: Header=BB2_10 Depth=1
	s_or_b64 exec, exec, s[34:35]
	s_waitcnt lgkmcnt(0)
	; wave barrier
	s_waitcnt lgkmcnt(0)
	ds_read_b128 v[16:19], v15
	ds_read2_b32 v[4:5], v14 offset1:4
	ds_read2_b32 v[20:21], v14 offset0:8 offset1:12
	s_add_i32 s28, s28, 1
	s_add_u32 s12, s12, 4
	s_addc_u32 s13, s13, 0
	s_waitcnt lgkmcnt(1)
	v_fmac_f32_e32 v7, v4, v16
	v_fmac_f32_e32 v7, v5, v17
	s_waitcnt lgkmcnt(0)
	v_fmac_f32_e32 v7, v20, v18
	v_fmac_f32_e32 v7, v21, v19
	s_cmp_ge_i32 s28, s11
	v_add_u32_e32 v2, 4, v2
	s_waitcnt lgkmcnt(0)
	; wave barrier
	s_cbranch_scc1 .LBB2_18
.LBB2_10:                               ; =>This Inner Loop Header: Depth=1
	v_mov_b32_e32 v3, 0
	s_and_saveexec_b64 s[34:35], s[18:19]
	s_cbranch_execz .LBB2_16
; %bb.11:                               ;   in Loop: Header=BB2_10 Depth=1
	s_load_dword s7, s[12:13], 0x0
	s_and_b64 vcc, exec, s[16:17]
	s_waitcnt lgkmcnt(0)
	s_sub_i32 s7, s7, s22
	s_lshl_b32 s36, s7, 2
	s_cbranch_vccz .LBB2_13
; %bb.12:                               ;   in Loop: Header=BB2_10 Depth=1
	v_or_b32_e32 v3, s36, v6
	s_ashr_i32 s7, s36, 31
	v_mul_lo_u32 v16, v3, s9
	s_mul_i32 s7, s7, s8
	v_mad_u64_u32 v[4:5], s[38:39], v3, s8, 0
	v_add3_u32 v5, v5, v16, s7
	v_lshlrev_b64 v[4:5], 2, v[4:5]
	v_add_co_u32_e32 v4, vcc, v8, v4
	v_addc_co_u32_e32 v5, vcc, v9, v5, vcc
	s_cbranch_execz .LBB2_14
	s_branch .LBB2_15
.LBB2_13:                               ;   in Loop: Header=BB2_10 Depth=1
                                        ; implicit-def: $vgpr4_vgpr5
.LBB2_14:                               ;   in Loop: Header=BB2_10 Depth=1
	s_ashr_i32 s37, s36, 31
	s_lshl_b64 s[36:37], s[36:37], 2
	v_mov_b32_e32 v3, s37
	v_add_co_u32_e32 v4, vcc, s36, v11
	v_addc_co_u32_e32 v5, vcc, v12, v3, vcc
.LBB2_15:                               ;   in Loop: Header=BB2_10 Depth=1
	global_load_dword v3, v[4:5], off
.LBB2_16:                               ;   in Loop: Header=BB2_10 Depth=1
	s_or_b64 exec, exec, s[34:35]
	s_waitcnt vmcnt(0)
	ds_write_b32 v10, v3
	s_and_saveexec_b64 s[34:35], s[30:31]
	s_cbranch_execz .LBB2_9
; %bb.17:                               ;   in Loop: Header=BB2_10 Depth=1
	v_ashrrev_i32_e32 v3, 31, v2
	v_lshlrev_b64 v[4:5], 2, v[2:3]
	v_mov_b32_e32 v3, s15
	v_add_co_u32_e32 v4, vcc, s14, v4
	v_addc_co_u32_e32 v5, vcc, v3, v5, vcc
	global_load_dword v3, v[4:5], off
	s_waitcnt vmcnt(0)
	ds_write_b32 v13, v3
	s_branch .LBB2_9
.LBB2_18:
	s_and_b64 s[0:1], s[2:3], s[0:1]
	s_and_b64 s[0:1], s[26:27], s[0:1]
	s_and_saveexec_b64 s[2:3], s[0:1]
	s_cbranch_execz .LBB2_22
; %bb.19:
	s_load_dwordx2 s[0:1], s[4:5], 0x58
	v_add_u32_e32 v2, s6, v6
	s_waitcnt lgkmcnt(0)
	v_mul_lo_u32 v3, v1, s0
	v_mul_lo_u32 v4, v0, s1
	v_mad_u64_u32 v[0:1], s[0:1], v0, s0, 0
	v_add3_u32 v1, v1, v4, v3
	v_cmp_neq_f32_e64 s[0:1], s10, 0
	s_and_b64 vcc, exec, s[0:1]
	v_ashrrev_i32_e32 v3, 31, v2
	v_mul_f32_e32 v4, s20, v7
	v_lshlrev_b64 v[0:1], 2, v[0:1]
	s_cbranch_vccz .LBB2_23
; %bb.20:
	v_mov_b32_e32 v5, s25
	v_add_co_u32_e32 v8, vcc, s24, v0
	v_addc_co_u32_e32 v5, vcc, v5, v1, vcc
	v_lshlrev_b64 v[6:7], 2, v[2:3]
	v_add_co_u32_e32 v6, vcc, v8, v6
	v_addc_co_u32_e32 v7, vcc, v5, v7, vcc
	global_load_dword v5, v[6:7], off
	s_waitcnt vmcnt(0)
	v_fma_f32 v5, s10, v5, v4
	global_store_dword v[6:7], v5, off
	s_cbranch_execnz .LBB2_22
.LBB2_21:
	v_mov_b32_e32 v5, s25
	v_add_co_u32_e32 v6, vcc, s24, v0
	v_addc_co_u32_e32 v5, vcc, v5, v1, vcc
	v_lshlrev_b64 v[0:1], 2, v[2:3]
	v_add_co_u32_e32 v0, vcc, v6, v0
	v_addc_co_u32_e32 v1, vcc, v5, v1, vcc
	global_store_dword v[0:1], v4, off
.LBB2_22:
	s_endpgm
.LBB2_23:
	s_branch .LBB2_21
	.section	.rodata,"a",@progbits
	.p2align	6, 0x0
	.amdhsa_kernel _ZN9rocsparseL29gebsrmm_small_blockdim_kernelILi1ELi4ELi4ELi16EfEEv20rocsparse_direction_20rocsparse_operation_iiNS_24const_host_device_scalarIT3_EEPKiS7_PKS4_iiS9_lS5_PS4_l21rocsparse_index_base_b
		.amdhsa_group_segment_fixed_size 320
		.amdhsa_private_segment_fixed_size 0
		.amdhsa_kernarg_size 104
		.amdhsa_user_sgpr_count 6
		.amdhsa_user_sgpr_private_segment_buffer 1
		.amdhsa_user_sgpr_dispatch_ptr 0
		.amdhsa_user_sgpr_queue_ptr 0
		.amdhsa_user_sgpr_kernarg_segment_ptr 1
		.amdhsa_user_sgpr_dispatch_id 0
		.amdhsa_user_sgpr_flat_scratch_init 0
		.amdhsa_user_sgpr_kernarg_preload_length 0
		.amdhsa_user_sgpr_kernarg_preload_offset 0
		.amdhsa_user_sgpr_private_segment_size 0
		.amdhsa_uses_dynamic_stack 0
		.amdhsa_system_sgpr_private_segment_wavefront_offset 0
		.amdhsa_system_sgpr_workgroup_id_x 1
		.amdhsa_system_sgpr_workgroup_id_y 1
		.amdhsa_system_sgpr_workgroup_id_z 0
		.amdhsa_system_sgpr_workgroup_info 0
		.amdhsa_system_vgpr_workitem_id 1
		.amdhsa_next_free_vgpr 22
		.amdhsa_next_free_sgpr 40
		.amdhsa_accum_offset 24
		.amdhsa_reserve_vcc 1
		.amdhsa_reserve_flat_scratch 0
		.amdhsa_float_round_mode_32 0
		.amdhsa_float_round_mode_16_64 0
		.amdhsa_float_denorm_mode_32 3
		.amdhsa_float_denorm_mode_16_64 3
		.amdhsa_dx10_clamp 1
		.amdhsa_ieee_mode 1
		.amdhsa_fp16_overflow 0
		.amdhsa_tg_split 0
		.amdhsa_exception_fp_ieee_invalid_op 0
		.amdhsa_exception_fp_denorm_src 0
		.amdhsa_exception_fp_ieee_div_zero 0
		.amdhsa_exception_fp_ieee_overflow 0
		.amdhsa_exception_fp_ieee_underflow 0
		.amdhsa_exception_fp_ieee_inexact 0
		.amdhsa_exception_int_div_zero 0
	.end_amdhsa_kernel
	.section	.text._ZN9rocsparseL29gebsrmm_small_blockdim_kernelILi1ELi4ELi4ELi16EfEEv20rocsparse_direction_20rocsparse_operation_iiNS_24const_host_device_scalarIT3_EEPKiS7_PKS4_iiS9_lS5_PS4_l21rocsparse_index_base_b,"axG",@progbits,_ZN9rocsparseL29gebsrmm_small_blockdim_kernelILi1ELi4ELi4ELi16EfEEv20rocsparse_direction_20rocsparse_operation_iiNS_24const_host_device_scalarIT3_EEPKiS7_PKS4_iiS9_lS5_PS4_l21rocsparse_index_base_b,comdat
.Lfunc_end2:
	.size	_ZN9rocsparseL29gebsrmm_small_blockdim_kernelILi1ELi4ELi4ELi16EfEEv20rocsparse_direction_20rocsparse_operation_iiNS_24const_host_device_scalarIT3_EEPKiS7_PKS4_iiS9_lS5_PS4_l21rocsparse_index_base_b, .Lfunc_end2-_ZN9rocsparseL29gebsrmm_small_blockdim_kernelILi1ELi4ELi4ELi16EfEEv20rocsparse_direction_20rocsparse_operation_iiNS_24const_host_device_scalarIT3_EEPKiS7_PKS4_iiS9_lS5_PS4_l21rocsparse_index_base_b
                                        ; -- End function
	.section	.AMDGPU.csdata,"",@progbits
; Kernel info:
; codeLenInByte = 936
; NumSgprs: 44
; NumVgprs: 22
; NumAgprs: 0
; TotalNumVgprs: 22
; ScratchSize: 0
; MemoryBound: 0
; FloatMode: 240
; IeeeMode: 1
; LDSByteSize: 320 bytes/workgroup (compile time only)
; SGPRBlocks: 5
; VGPRBlocks: 2
; NumSGPRsForWavesPerEU: 44
; NumVGPRsForWavesPerEU: 22
; AccumOffset: 24
; Occupancy: 8
; WaveLimiterHint : 0
; COMPUTE_PGM_RSRC2:SCRATCH_EN: 0
; COMPUTE_PGM_RSRC2:USER_SGPR: 6
; COMPUTE_PGM_RSRC2:TRAP_HANDLER: 0
; COMPUTE_PGM_RSRC2:TGID_X_EN: 1
; COMPUTE_PGM_RSRC2:TGID_Y_EN: 1
; COMPUTE_PGM_RSRC2:TGID_Z_EN: 0
; COMPUTE_PGM_RSRC2:TIDIG_COMP_CNT: 1
; COMPUTE_PGM_RSRC3_GFX90A:ACCUM_OFFSET: 5
; COMPUTE_PGM_RSRC3_GFX90A:TG_SPLIT: 0
	.section	.text._ZN9rocsparseL29gebsrmm_small_blockdim_kernelILi2ELi1ELi2ELi16EfEEv20rocsparse_direction_20rocsparse_operation_iiNS_24const_host_device_scalarIT3_EEPKiS7_PKS4_iiS9_lS5_PS4_l21rocsparse_index_base_b,"axG",@progbits,_ZN9rocsparseL29gebsrmm_small_blockdim_kernelILi2ELi1ELi2ELi16EfEEv20rocsparse_direction_20rocsparse_operation_iiNS_24const_host_device_scalarIT3_EEPKiS7_PKS4_iiS9_lS5_PS4_l21rocsparse_index_base_b,comdat
	.globl	_ZN9rocsparseL29gebsrmm_small_blockdim_kernelILi2ELi1ELi2ELi16EfEEv20rocsparse_direction_20rocsparse_operation_iiNS_24const_host_device_scalarIT3_EEPKiS7_PKS4_iiS9_lS5_PS4_l21rocsparse_index_base_b ; -- Begin function _ZN9rocsparseL29gebsrmm_small_blockdim_kernelILi2ELi1ELi2ELi16EfEEv20rocsparse_direction_20rocsparse_operation_iiNS_24const_host_device_scalarIT3_EEPKiS7_PKS4_iiS9_lS5_PS4_l21rocsparse_index_base_b
	.p2align	8
	.type	_ZN9rocsparseL29gebsrmm_small_blockdim_kernelILi2ELi1ELi2ELi16EfEEv20rocsparse_direction_20rocsparse_operation_iiNS_24const_host_device_scalarIT3_EEPKiS7_PKS4_iiS9_lS5_PS4_l21rocsparse_index_base_b,@function
_ZN9rocsparseL29gebsrmm_small_blockdim_kernelILi2ELi1ELi2ELi16EfEEv20rocsparse_direction_20rocsparse_operation_iiNS_24const_host_device_scalarIT3_EEPKiS7_PKS4_iiS9_lS5_PS4_l21rocsparse_index_base_b: ; @_ZN9rocsparseL29gebsrmm_small_blockdim_kernelILi2ELi1ELi2ELi16EfEEv20rocsparse_direction_20rocsparse_operation_iiNS_24const_host_device_scalarIT3_EEPKiS7_PKS4_iiS9_lS5_PS4_l21rocsparse_index_base_b
; %bb.0:
	s_load_dwordx2 s[22:23], s[4:5], 0x60
	s_load_dwordx2 s[20:21], s[4:5], 0x10
	s_load_dwordx4 s[8:11], s[4:5], 0x40
	s_waitcnt lgkmcnt(0)
	s_bitcmp1_b32 s23, 0
	s_cselect_b64 s[2:3], -1, 0
	s_xor_b64 s[0:1], s[2:3], -1
	s_and_b64 vcc, exec, s[2:3]
	s_cbranch_vccnz .LBB3_2
; %bb.1:
	s_load_dword s20, s[20:21], 0x0
.LBB3_2:
	s_andn2_b64 vcc, exec, s[0:1]
	s_cbranch_vccnz .LBB3_4
; %bb.3:
	s_load_dword s10, s[10:11], 0x0
.LBB3_4:
	s_waitcnt lgkmcnt(0)
	v_cmp_eq_f32_e64 s[0:1], s20, 0
	v_cmp_eq_f32_e64 s[2:3], s10, 1.0
	s_and_b64 s[0:1], s[0:1], s[2:3]
	s_mov_b32 s28, 0
	s_and_b64 vcc, exec, s[0:1]
	s_cbranch_vccnz .LBB3_22
; %bb.5:
	s_load_dwordx4 s[16:19], s[4:5], 0x4
	s_mov_b32 s11, 0
	s_waitcnt lgkmcnt(0)
	s_cmp_lt_i32 s6, s17
	s_cselect_b64 s[26:27], -1, 0
	s_cmp_ge_i32 s6, s17
	s_cbranch_scc1 .LBB3_7
; %bb.6:
	s_load_dwordx2 s[2:3], s[4:5], 0x18
	s_mov_b32 s0, s7
	s_ashr_i32 s7, s6, 31
	s_lshl_b64 s[12:13], s[6:7], 2
	s_mov_b32 s7, s0
	s_waitcnt lgkmcnt(0)
	s_add_u32 s0, s2, s12
	s_addc_u32 s1, s3, s13
	s_load_dwordx2 s[0:1], s[0:1], 0x0
	s_waitcnt lgkmcnt(0)
	s_sub_i32 s28, s0, s22
	s_sub_i32 s11, s1, s22
.LBB3_7:
	s_load_dwordx2 s[24:25], s[4:5], 0x50
	v_bfe_u32 v2, v0, 10, 10
	v_and_b32_e32 v6, 0x3ff, v0
	v_lshl_add_u32 v0, s7, 4, v2
	v_ashrrev_i32_e32 v1, 31, v0
	v_cmp_gt_i32_e64 s[0:1], s18, v0
	v_cmp_gt_u32_e64 s[2:3], 2, v6
	s_cmp_ge_i32 s28, s11
	v_mov_b32_e32 v7, 0
	s_cbranch_scc1 .LBB3_18
; %bb.8:
	s_load_dwordx4 s[12:15], s[4:5], 0x20
	s_load_dwordx2 s[34:35], s[4:5], 0x38
	v_cmp_eq_u32_e32 vcc, 0, v6
	s_and_b64 s[18:19], vcc, s[0:1]
	v_cmp_eq_u32_e32 vcc, 0, v2
	v_lshlrev_b64 v[4:5], 2, v[0:1]
	s_and_b64 s[30:31], s[2:3], vcc
	s_waitcnt lgkmcnt(0)
	v_mov_b32_e32 v3, s35
	v_add_co_u32_e32 v8, vcc, s34, v4
	v_addc_co_u32_e32 v9, vcc, v3, v5, vcc
	v_mul_lo_u32 v7, v1, s8
	v_mul_lo_u32 v10, v0, s9
	v_mad_u64_u32 v[4:5], s[36:37], v0, s8, 0
	v_add3_u32 v5, v5, v10, v7
	s_cmpk_lg_i32 s16, 0x6f
	s_cselect_b64 s[16:17], -1, 0
	v_lshlrev_b64 v[4:5], 2, v[4:5]
	s_ashr_i32 s29, s28, 31
	v_lshlrev_b32_e32 v7, 1, v2
	v_add_co_u32_e32 v11, vcc, s34, v4
	s_lshl_b64 s[34:35], s[28:29], 2
	v_add_lshl_u32 v10, v7, v6, 2
	v_addc_co_u32_e32 v12, vcc, v3, v5, vcc
	v_mov_b32_e32 v3, 0x80
	s_add_u32 s12, s12, s34
	v_add_u32_e32 v13, 0x80, v10
	v_lshl_add_u32 v14, v6, 2, v3
	v_lshlrev_b32_e32 v15, 3, v2
	s_addc_u32 s13, s13, s35
	v_lshl_add_u32 v2, s28, 1, v6
	v_mov_b32_e32 v7, 0
	s_branch .LBB3_10
.LBB3_9:                                ;   in Loop: Header=BB3_10 Depth=1
	s_or_b64 exec, exec, s[34:35]
	s_waitcnt lgkmcnt(0)
	; wave barrier
	s_waitcnt lgkmcnt(0)
	ds_read_b32 v3, v14
	ds_read_b32 v4, v15
	s_add_i32 s28, s28, 1
	s_add_u32 s12, s12, 4
	s_addc_u32 s13, s13, 0
	s_cmp_ge_i32 s28, s11
	s_waitcnt lgkmcnt(0)
	v_fmac_f32_e32 v7, v3, v4
	v_add_u32_e32 v2, 2, v2
	s_waitcnt lgkmcnt(0)
	; wave barrier
	s_cbranch_scc1 .LBB3_18
.LBB3_10:                               ; =>This Inner Loop Header: Depth=1
	v_mov_b32_e32 v3, 0
	s_and_saveexec_b64 s[34:35], s[18:19]
	s_cbranch_execz .LBB3_16
; %bb.11:                               ;   in Loop: Header=BB3_10 Depth=1
	s_load_dword s7, s[12:13], 0x0
	s_and_b64 vcc, exec, s[16:17]
	s_waitcnt lgkmcnt(0)
	s_sub_i32 s36, s7, s22
	s_ashr_i32 s37, s36, 31
	s_cbranch_vccz .LBB3_13
; %bb.12:                               ;   in Loop: Header=BB3_10 Depth=1
	s_mul_i32 s7, s36, s9
	s_mul_hi_u32 s21, s36, s8
	s_add_i32 s7, s21, s7
	s_mul_i32 s21, s37, s8
	s_add_i32 s39, s7, s21
	s_mul_i32 s38, s36, s8
	s_lshl_b64 s[38:39], s[38:39], 2
	v_mov_b32_e32 v3, s39
	v_add_co_u32_e32 v4, vcc, s38, v8
	v_addc_co_u32_e32 v5, vcc, v9, v3, vcc
	s_cbranch_execz .LBB3_14
	s_branch .LBB3_15
.LBB3_13:                               ;   in Loop: Header=BB3_10 Depth=1
                                        ; implicit-def: $vgpr4_vgpr5
.LBB3_14:                               ;   in Loop: Header=BB3_10 Depth=1
	s_lshl_b64 s[36:37], s[36:37], 2
	v_mov_b32_e32 v3, s37
	v_add_co_u32_e32 v4, vcc, s36, v11
	v_addc_co_u32_e32 v5, vcc, v12, v3, vcc
.LBB3_15:                               ;   in Loop: Header=BB3_10 Depth=1
	global_load_dword v3, v[4:5], off
.LBB3_16:                               ;   in Loop: Header=BB3_10 Depth=1
	s_or_b64 exec, exec, s[34:35]
	s_waitcnt vmcnt(0)
	ds_write_b32 v10, v3
	s_and_saveexec_b64 s[34:35], s[30:31]
	s_cbranch_execz .LBB3_9
; %bb.17:                               ;   in Loop: Header=BB3_10 Depth=1
	v_ashrrev_i32_e32 v3, 31, v2
	v_lshlrev_b64 v[4:5], 2, v[2:3]
	v_mov_b32_e32 v3, s15
	v_add_co_u32_e32 v4, vcc, s14, v4
	v_addc_co_u32_e32 v5, vcc, v3, v5, vcc
	global_load_dword v3, v[4:5], off
	s_waitcnt vmcnt(0)
	ds_write_b32 v13, v3
	s_branch .LBB3_9
.LBB3_18:
	s_and_b64 s[0:1], s[2:3], s[0:1]
	s_and_b64 s[0:1], s[26:27], s[0:1]
	s_and_saveexec_b64 s[2:3], s[0:1]
	s_cbranch_execz .LBB3_22
; %bb.19:
	s_load_dwordx2 s[0:1], s[4:5], 0x58
	v_lshl_add_u32 v2, s6, 1, v6
	s_waitcnt lgkmcnt(0)
	v_mul_lo_u32 v3, v1, s0
	v_mul_lo_u32 v4, v0, s1
	v_mad_u64_u32 v[0:1], s[0:1], v0, s0, 0
	v_add3_u32 v1, v1, v4, v3
	v_cmp_neq_f32_e64 s[0:1], s10, 0
	s_and_b64 vcc, exec, s[0:1]
	v_ashrrev_i32_e32 v3, 31, v2
	v_mul_f32_e32 v4, s20, v7
	v_lshlrev_b64 v[0:1], 2, v[0:1]
	s_cbranch_vccz .LBB3_23
; %bb.20:
	v_mov_b32_e32 v5, s25
	v_add_co_u32_e32 v8, vcc, s24, v0
	v_addc_co_u32_e32 v5, vcc, v5, v1, vcc
	v_lshlrev_b64 v[6:7], 2, v[2:3]
	v_add_co_u32_e32 v6, vcc, v8, v6
	v_addc_co_u32_e32 v7, vcc, v5, v7, vcc
	global_load_dword v5, v[6:7], off
	s_waitcnt vmcnt(0)
	v_fma_f32 v5, s10, v5, v4
	global_store_dword v[6:7], v5, off
	s_cbranch_execnz .LBB3_22
.LBB3_21:
	v_mov_b32_e32 v5, s25
	v_add_co_u32_e32 v6, vcc, s24, v0
	v_addc_co_u32_e32 v5, vcc, v5, v1, vcc
	v_lshlrev_b64 v[0:1], 2, v[2:3]
	v_add_co_u32_e32 v0, vcc, v6, v0
	v_addc_co_u32_e32 v1, vcc, v5, v1, vcc
	global_store_dword v[0:1], v4, off
.LBB3_22:
	s_endpgm
.LBB3_23:
	s_branch .LBB3_21
	.section	.rodata,"a",@progbits
	.p2align	6, 0x0
	.amdhsa_kernel _ZN9rocsparseL29gebsrmm_small_blockdim_kernelILi2ELi1ELi2ELi16EfEEv20rocsparse_direction_20rocsparse_operation_iiNS_24const_host_device_scalarIT3_EEPKiS7_PKS4_iiS9_lS5_PS4_l21rocsparse_index_base_b
		.amdhsa_group_segment_fixed_size 144
		.amdhsa_private_segment_fixed_size 0
		.amdhsa_kernarg_size 104
		.amdhsa_user_sgpr_count 6
		.amdhsa_user_sgpr_private_segment_buffer 1
		.amdhsa_user_sgpr_dispatch_ptr 0
		.amdhsa_user_sgpr_queue_ptr 0
		.amdhsa_user_sgpr_kernarg_segment_ptr 1
		.amdhsa_user_sgpr_dispatch_id 0
		.amdhsa_user_sgpr_flat_scratch_init 0
		.amdhsa_user_sgpr_kernarg_preload_length 0
		.amdhsa_user_sgpr_kernarg_preload_offset 0
		.amdhsa_user_sgpr_private_segment_size 0
		.amdhsa_uses_dynamic_stack 0
		.amdhsa_system_sgpr_private_segment_wavefront_offset 0
		.amdhsa_system_sgpr_workgroup_id_x 1
		.amdhsa_system_sgpr_workgroup_id_y 1
		.amdhsa_system_sgpr_workgroup_id_z 0
		.amdhsa_system_sgpr_workgroup_info 0
		.amdhsa_system_vgpr_workitem_id 1
		.amdhsa_next_free_vgpr 16
		.amdhsa_next_free_sgpr 40
		.amdhsa_accum_offset 16
		.amdhsa_reserve_vcc 1
		.amdhsa_reserve_flat_scratch 0
		.amdhsa_float_round_mode_32 0
		.amdhsa_float_round_mode_16_64 0
		.amdhsa_float_denorm_mode_32 3
		.amdhsa_float_denorm_mode_16_64 3
		.amdhsa_dx10_clamp 1
		.amdhsa_ieee_mode 1
		.amdhsa_fp16_overflow 0
		.amdhsa_tg_split 0
		.amdhsa_exception_fp_ieee_invalid_op 0
		.amdhsa_exception_fp_denorm_src 0
		.amdhsa_exception_fp_ieee_div_zero 0
		.amdhsa_exception_fp_ieee_overflow 0
		.amdhsa_exception_fp_ieee_underflow 0
		.amdhsa_exception_fp_ieee_inexact 0
		.amdhsa_exception_int_div_zero 0
	.end_amdhsa_kernel
	.section	.text._ZN9rocsparseL29gebsrmm_small_blockdim_kernelILi2ELi1ELi2ELi16EfEEv20rocsparse_direction_20rocsparse_operation_iiNS_24const_host_device_scalarIT3_EEPKiS7_PKS4_iiS9_lS5_PS4_l21rocsparse_index_base_b,"axG",@progbits,_ZN9rocsparseL29gebsrmm_small_blockdim_kernelILi2ELi1ELi2ELi16EfEEv20rocsparse_direction_20rocsparse_operation_iiNS_24const_host_device_scalarIT3_EEPKiS7_PKS4_iiS9_lS5_PS4_l21rocsparse_index_base_b,comdat
.Lfunc_end3:
	.size	_ZN9rocsparseL29gebsrmm_small_blockdim_kernelILi2ELi1ELi2ELi16EfEEv20rocsparse_direction_20rocsparse_operation_iiNS_24const_host_device_scalarIT3_EEPKiS7_PKS4_iiS9_lS5_PS4_l21rocsparse_index_base_b, .Lfunc_end3-_ZN9rocsparseL29gebsrmm_small_blockdim_kernelILi2ELi1ELi2ELi16EfEEv20rocsparse_direction_20rocsparse_operation_iiNS_24const_host_device_scalarIT3_EEPKiS7_PKS4_iiS9_lS5_PS4_l21rocsparse_index_base_b
                                        ; -- End function
	.section	.AMDGPU.csdata,"",@progbits
; Kernel info:
; codeLenInByte = 896
; NumSgprs: 44
; NumVgprs: 16
; NumAgprs: 0
; TotalNumVgprs: 16
; ScratchSize: 0
; MemoryBound: 0
; FloatMode: 240
; IeeeMode: 1
; LDSByteSize: 144 bytes/workgroup (compile time only)
; SGPRBlocks: 5
; VGPRBlocks: 1
; NumSGPRsForWavesPerEU: 44
; NumVGPRsForWavesPerEU: 16
; AccumOffset: 16
; Occupancy: 8
; WaveLimiterHint : 0
; COMPUTE_PGM_RSRC2:SCRATCH_EN: 0
; COMPUTE_PGM_RSRC2:USER_SGPR: 6
; COMPUTE_PGM_RSRC2:TRAP_HANDLER: 0
; COMPUTE_PGM_RSRC2:TGID_X_EN: 1
; COMPUTE_PGM_RSRC2:TGID_Y_EN: 1
; COMPUTE_PGM_RSRC2:TGID_Z_EN: 0
; COMPUTE_PGM_RSRC2:TIDIG_COMP_CNT: 1
; COMPUTE_PGM_RSRC3_GFX90A:ACCUM_OFFSET: 3
; COMPUTE_PGM_RSRC3_GFX90A:TG_SPLIT: 0
	.section	.text._ZN9rocsparseL29gebsrmm_small_blockdim_kernelILi2ELi3ELi3ELi16EfEEv20rocsparse_direction_20rocsparse_operation_iiNS_24const_host_device_scalarIT3_EEPKiS7_PKS4_iiS9_lS5_PS4_l21rocsparse_index_base_b,"axG",@progbits,_ZN9rocsparseL29gebsrmm_small_blockdim_kernelILi2ELi3ELi3ELi16EfEEv20rocsparse_direction_20rocsparse_operation_iiNS_24const_host_device_scalarIT3_EEPKiS7_PKS4_iiS9_lS5_PS4_l21rocsparse_index_base_b,comdat
	.globl	_ZN9rocsparseL29gebsrmm_small_blockdim_kernelILi2ELi3ELi3ELi16EfEEv20rocsparse_direction_20rocsparse_operation_iiNS_24const_host_device_scalarIT3_EEPKiS7_PKS4_iiS9_lS5_PS4_l21rocsparse_index_base_b ; -- Begin function _ZN9rocsparseL29gebsrmm_small_blockdim_kernelILi2ELi3ELi3ELi16EfEEv20rocsparse_direction_20rocsparse_operation_iiNS_24const_host_device_scalarIT3_EEPKiS7_PKS4_iiS9_lS5_PS4_l21rocsparse_index_base_b
	.p2align	8
	.type	_ZN9rocsparseL29gebsrmm_small_blockdim_kernelILi2ELi3ELi3ELi16EfEEv20rocsparse_direction_20rocsparse_operation_iiNS_24const_host_device_scalarIT3_EEPKiS7_PKS4_iiS9_lS5_PS4_l21rocsparse_index_base_b,@function
_ZN9rocsparseL29gebsrmm_small_blockdim_kernelILi2ELi3ELi3ELi16EfEEv20rocsparse_direction_20rocsparse_operation_iiNS_24const_host_device_scalarIT3_EEPKiS7_PKS4_iiS9_lS5_PS4_l21rocsparse_index_base_b: ; @_ZN9rocsparseL29gebsrmm_small_blockdim_kernelILi2ELi3ELi3ELi16EfEEv20rocsparse_direction_20rocsparse_operation_iiNS_24const_host_device_scalarIT3_EEPKiS7_PKS4_iiS9_lS5_PS4_l21rocsparse_index_base_b
; %bb.0:
	s_load_dwordx2 s[22:23], s[4:5], 0x60
	s_load_dwordx2 s[20:21], s[4:5], 0x10
	s_load_dwordx4 s[12:15], s[4:5], 0x40
	s_waitcnt lgkmcnt(0)
	s_bitcmp1_b32 s23, 0
	s_cselect_b64 s[2:3], -1, 0
	s_xor_b64 s[0:1], s[2:3], -1
	s_and_b64 vcc, exec, s[2:3]
	s_cbranch_vccnz .LBB4_2
; %bb.1:
	s_load_dword s20, s[20:21], 0x0
.LBB4_2:
	s_andn2_b64 vcc, exec, s[0:1]
	s_cbranch_vccnz .LBB4_4
; %bb.3:
	s_load_dword s14, s[14:15], 0x0
.LBB4_4:
	s_waitcnt lgkmcnt(0)
	v_cmp_eq_f32_e64 s[0:1], s20, 0
	v_cmp_eq_f32_e64 s[2:3], s14, 1.0
	s_and_b64 s[0:1], s[0:1], s[2:3]
	s_mov_b32 s28, 0
	s_and_b64 vcc, exec, s[0:1]
	s_cbranch_vccnz .LBB4_22
; %bb.5:
	s_load_dwordx4 s[8:11], s[4:5], 0x0
	s_mov_b32 s15, 0
	s_waitcnt lgkmcnt(0)
	s_cmp_lt_i32 s6, s10
	s_cselect_b64 s[26:27], -1, 0
	s_cmp_ge_i32 s6, s10
	s_cbranch_scc1 .LBB4_7
; %bb.6:
	s_load_dwordx2 s[2:3], s[4:5], 0x18
	s_mov_b32 s0, s7
	s_ashr_i32 s7, s6, 31
	s_lshl_b64 s[16:17], s[6:7], 2
	s_mov_b32 s7, s0
	s_waitcnt lgkmcnt(0)
	s_add_u32 s0, s2, s16
	s_addc_u32 s1, s3, s17
	s_load_dwordx2 s[0:1], s[0:1], 0x0
	s_waitcnt lgkmcnt(0)
	s_sub_i32 s28, s0, s22
	s_sub_i32 s15, s1, s22
.LBB4_7:
	s_load_dwordx2 s[24:25], s[4:5], 0x50
	v_bfe_u32 v2, v0, 10, 10
	v_and_b32_e32 v4, 0x3ff, v0
	v_lshl_add_u32 v0, s7, 4, v2
	v_ashrrev_i32_e32 v1, 31, v0
	v_cmp_gt_i32_e64 s[0:1], s11, v0
	v_cmp_gt_u32_e64 s[2:3], 2, v4
	s_cmp_ge_i32 s28, s15
	v_mov_b32_e32 v5, 0
	s_cbranch_scc1 .LBB4_18
; %bb.8:
	s_load_dwordx4 s[16:19], s[4:5], 0x20
	s_load_dwordx2 s[36:37], s[4:5], 0x38
	v_cmp_gt_u32_e32 vcc, 3, v4
	s_and_b64 s[10:11], vcc, s[0:1]
	v_cmp_gt_u32_e32 vcc, 3, v2
	v_lshlrev_b64 v[6:7], 2, v[0:1]
	v_mul_lo_u32 v5, v1, s12
	v_mul_lo_u32 v8, v0, s13
	v_mad_u64_u32 v[10:11], s[34:35], v0, s12, 0
	s_and_b64 s[30:31], s[2:3], vcc
	s_waitcnt lgkmcnt(0)
	v_mov_b32_e32 v3, s37
	v_add_co_u32_e32 v6, vcc, s36, v6
	v_add3_u32 v11, v11, v8, v5
	v_addc_co_u32_e32 v7, vcc, v3, v7, vcc
	s_cmpk_lg_i32 s9, 0x6f
	v_lshlrev_b64 v[10:11], 2, v[10:11]
	s_cselect_b64 s[34:35], -1, 0
	v_add_co_u32_e32 v9, vcc, s36, v10
	s_cmp_eq_u32 s8, 0
	v_addc_co_u32_e32 v3, vcc, v3, v11, vcc
	v_lshlrev_b32_e32 v12, 2, v4
	s_cselect_b64 s[8:9], -1, 0
	s_ashr_i32 s29, s28, 31
	v_mul_u32_u24_e32 v13, 3, v2
	v_add_co_u32_e32 v9, vcc, v9, v12
	s_lshl_b64 s[36:37], s[28:29], 2
	v_add_lshl_u32 v8, v13, v4, 2
	v_addc_co_u32_e32 v10, vcc, 0, v3, vcc
	v_lshlrev_b32_e32 v3, 1, v2
	v_mul_u32_u24_e32 v15, 3, v4
	s_add_u32 s16, s16, s36
	s_mul_i32 s7, s28, 6
	v_mov_b32_e32 v5, 0
	v_add_u32_e32 v11, 0xc0, v8
	v_add_u32_e32 v12, 0xc0, v12
	v_lshlrev_b32_e32 v13, 2, v13
	s_addc_u32 s17, s17, s37
	v_add3_u32 v14, v4, s7, v3
	v_add3_u32 v15, v15, v2, s7
	s_branch .LBB4_10
.LBB4_9:                                ;   in Loop: Header=BB4_10 Depth=1
	s_or_b64 exec, exec, s[36:37]
	s_waitcnt lgkmcnt(0)
	; wave barrier
	s_waitcnt lgkmcnt(0)
	ds_read2_b32 v[2:3], v12 offset1:3
	ds_read2_b32 v[16:17], v13 offset1:1
	ds_read_b32 v18, v13 offset:8
	ds_read_b32 v19, v12 offset:24
	s_add_i32 s28, s28, 1
	s_add_u32 s16, s16, 4
	s_waitcnt lgkmcnt(2)
	v_fmac_f32_e32 v5, v2, v16
	v_fmac_f32_e32 v5, v3, v17
	s_addc_u32 s17, s17, 0
	s_waitcnt lgkmcnt(0)
	v_fmac_f32_e32 v5, v19, v18
	v_add_u32_e32 v14, 6, v14
	s_cmp_ge_i32 s28, s15
	v_add_u32_e32 v15, 6, v15
	s_waitcnt lgkmcnt(0)
	; wave barrier
	s_cbranch_scc1 .LBB4_18
.LBB4_10:                               ; =>This Inner Loop Header: Depth=1
	v_mov_b32_e32 v2, 0
	s_and_saveexec_b64 s[36:37], s[10:11]
	s_cbranch_execz .LBB4_16
; %bb.11:                               ;   in Loop: Header=BB4_10 Depth=1
	s_load_dword s7, s[16:17], 0x0
	s_and_b64 vcc, exec, s[34:35]
	s_waitcnt lgkmcnt(0)
	s_sub_i32 s7, s7, s22
	s_mul_i32 s38, s7, 3
	s_cbranch_vccz .LBB4_13
; %bb.12:                               ;   in Loop: Header=BB4_10 Depth=1
	v_add_u32_e32 v2, s38, v4
	v_ashrrev_i32_e32 v3, 31, v2
	v_mul_lo_u32 v16, v3, s12
	v_mul_lo_u32 v17, v2, s13
	v_mad_u64_u32 v[2:3], s[40:41], v2, s12, 0
	v_add3_u32 v3, v3, v17, v16
	v_lshlrev_b64 v[2:3], 2, v[2:3]
	v_add_co_u32_e32 v2, vcc, v6, v2
	v_addc_co_u32_e32 v3, vcc, v7, v3, vcc
	s_cbranch_execz .LBB4_14
	s_branch .LBB4_15
.LBB4_13:                               ;   in Loop: Header=BB4_10 Depth=1
                                        ; implicit-def: $vgpr2_vgpr3
.LBB4_14:                               ;   in Loop: Header=BB4_10 Depth=1
	s_ashr_i32 s39, s38, 31
	s_lshl_b64 s[38:39], s[38:39], 2
	v_mov_b32_e32 v3, s39
	v_add_co_u32_e32 v2, vcc, s38, v9
	v_addc_co_u32_e32 v3, vcc, v10, v3, vcc
.LBB4_15:                               ;   in Loop: Header=BB4_10 Depth=1
	global_load_dword v2, v[2:3], off
.LBB4_16:                               ;   in Loop: Header=BB4_10 Depth=1
	s_or_b64 exec, exec, s[36:37]
	s_waitcnt vmcnt(0)
	ds_write_b32 v8, v2
	s_and_saveexec_b64 s[36:37], s[30:31]
	s_cbranch_execz .LBB4_9
; %bb.17:                               ;   in Loop: Header=BB4_10 Depth=1
	v_cndmask_b32_e64 v2, v14, v15, s[8:9]
	v_ashrrev_i32_e32 v3, 31, v2
	v_lshlrev_b64 v[2:3], 2, v[2:3]
	v_mov_b32_e32 v16, s19
	v_add_co_u32_e32 v2, vcc, s18, v2
	v_addc_co_u32_e32 v3, vcc, v16, v3, vcc
	global_load_dword v2, v[2:3], off
	s_waitcnt vmcnt(0)
	ds_write_b32 v11, v2
	s_branch .LBB4_9
.LBB4_18:
	s_and_b64 s[0:1], s[2:3], s[0:1]
	s_and_b64 s[0:1], s[26:27], s[0:1]
	s_and_saveexec_b64 s[2:3], s[0:1]
	s_cbranch_execz .LBB4_22
; %bb.19:
	s_load_dwordx2 s[0:1], s[4:5], 0x58
	v_lshl_add_u32 v2, s6, 1, v4
	s_waitcnt lgkmcnt(0)
	v_mul_lo_u32 v3, v1, s0
	v_mul_lo_u32 v4, v0, s1
	v_mad_u64_u32 v[0:1], s[0:1], v0, s0, 0
	v_add3_u32 v1, v1, v4, v3
	v_cmp_neq_f32_e64 s[0:1], s14, 0
	s_and_b64 vcc, exec, s[0:1]
	v_ashrrev_i32_e32 v3, 31, v2
	v_mul_f32_e32 v4, s20, v5
	v_lshlrev_b64 v[0:1], 2, v[0:1]
	s_cbranch_vccz .LBB4_23
; %bb.20:
	v_mov_b32_e32 v5, s25
	v_add_co_u32_e32 v8, vcc, s24, v0
	v_addc_co_u32_e32 v5, vcc, v5, v1, vcc
	v_lshlrev_b64 v[6:7], 2, v[2:3]
	v_add_co_u32_e32 v6, vcc, v8, v6
	v_addc_co_u32_e32 v7, vcc, v5, v7, vcc
	global_load_dword v5, v[6:7], off
	s_waitcnt vmcnt(0)
	v_fma_f32 v5, s14, v5, v4
	global_store_dword v[6:7], v5, off
	s_cbranch_execnz .LBB4_22
.LBB4_21:
	v_mov_b32_e32 v5, s25
	v_add_co_u32_e32 v6, vcc, s24, v0
	v_addc_co_u32_e32 v5, vcc, v5, v1, vcc
	v_lshlrev_b64 v[0:1], 2, v[2:3]
	v_add_co_u32_e32 v0, vcc, v6, v0
	v_addc_co_u32_e32 v1, vcc, v5, v1, vcc
	global_store_dword v[0:1], v4, off
.LBB4_22:
	s_endpgm
.LBB4_23:
	s_branch .LBB4_21
	.section	.rodata,"a",@progbits
	.p2align	6, 0x0
	.amdhsa_kernel _ZN9rocsparseL29gebsrmm_small_blockdim_kernelILi2ELi3ELi3ELi16EfEEv20rocsparse_direction_20rocsparse_operation_iiNS_24const_host_device_scalarIT3_EEPKiS7_PKS4_iiS9_lS5_PS4_l21rocsparse_index_base_b
		.amdhsa_group_segment_fixed_size 228
		.amdhsa_private_segment_fixed_size 0
		.amdhsa_kernarg_size 104
		.amdhsa_user_sgpr_count 6
		.amdhsa_user_sgpr_private_segment_buffer 1
		.amdhsa_user_sgpr_dispatch_ptr 0
		.amdhsa_user_sgpr_queue_ptr 0
		.amdhsa_user_sgpr_kernarg_segment_ptr 1
		.amdhsa_user_sgpr_dispatch_id 0
		.amdhsa_user_sgpr_flat_scratch_init 0
		.amdhsa_user_sgpr_kernarg_preload_length 0
		.amdhsa_user_sgpr_kernarg_preload_offset 0
		.amdhsa_user_sgpr_private_segment_size 0
		.amdhsa_uses_dynamic_stack 0
		.amdhsa_system_sgpr_private_segment_wavefront_offset 0
		.amdhsa_system_sgpr_workgroup_id_x 1
		.amdhsa_system_sgpr_workgroup_id_y 1
		.amdhsa_system_sgpr_workgroup_id_z 0
		.amdhsa_system_sgpr_workgroup_info 0
		.amdhsa_system_vgpr_workitem_id 1
		.amdhsa_next_free_vgpr 20
		.amdhsa_next_free_sgpr 42
		.amdhsa_accum_offset 20
		.amdhsa_reserve_vcc 1
		.amdhsa_reserve_flat_scratch 0
		.amdhsa_float_round_mode_32 0
		.amdhsa_float_round_mode_16_64 0
		.amdhsa_float_denorm_mode_32 3
		.amdhsa_float_denorm_mode_16_64 3
		.amdhsa_dx10_clamp 1
		.amdhsa_ieee_mode 1
		.amdhsa_fp16_overflow 0
		.amdhsa_tg_split 0
		.amdhsa_exception_fp_ieee_invalid_op 0
		.amdhsa_exception_fp_denorm_src 0
		.amdhsa_exception_fp_ieee_div_zero 0
		.amdhsa_exception_fp_ieee_overflow 0
		.amdhsa_exception_fp_ieee_underflow 0
		.amdhsa_exception_fp_ieee_inexact 0
		.amdhsa_exception_int_div_zero 0
	.end_amdhsa_kernel
	.section	.text._ZN9rocsparseL29gebsrmm_small_blockdim_kernelILi2ELi3ELi3ELi16EfEEv20rocsparse_direction_20rocsparse_operation_iiNS_24const_host_device_scalarIT3_EEPKiS7_PKS4_iiS9_lS5_PS4_l21rocsparse_index_base_b,"axG",@progbits,_ZN9rocsparseL29gebsrmm_small_blockdim_kernelILi2ELi3ELi3ELi16EfEEv20rocsparse_direction_20rocsparse_operation_iiNS_24const_host_device_scalarIT3_EEPKiS7_PKS4_iiS9_lS5_PS4_l21rocsparse_index_base_b,comdat
.Lfunc_end4:
	.size	_ZN9rocsparseL29gebsrmm_small_blockdim_kernelILi2ELi3ELi3ELi16EfEEv20rocsparse_direction_20rocsparse_operation_iiNS_24const_host_device_scalarIT3_EEPKiS7_PKS4_iiS9_lS5_PS4_l21rocsparse_index_base_b, .Lfunc_end4-_ZN9rocsparseL29gebsrmm_small_blockdim_kernelILi2ELi3ELi3ELi16EfEEv20rocsparse_direction_20rocsparse_operation_iiNS_24const_host_device_scalarIT3_EEPKiS7_PKS4_iiS9_lS5_PS4_l21rocsparse_index_base_b
                                        ; -- End function
	.section	.AMDGPU.csdata,"",@progbits
; Kernel info:
; codeLenInByte = 988
; NumSgprs: 46
; NumVgprs: 20
; NumAgprs: 0
; TotalNumVgprs: 20
; ScratchSize: 0
; MemoryBound: 0
; FloatMode: 240
; IeeeMode: 1
; LDSByteSize: 228 bytes/workgroup (compile time only)
; SGPRBlocks: 5
; VGPRBlocks: 2
; NumSGPRsForWavesPerEU: 46
; NumVGPRsForWavesPerEU: 20
; AccumOffset: 20
; Occupancy: 8
; WaveLimiterHint : 0
; COMPUTE_PGM_RSRC2:SCRATCH_EN: 0
; COMPUTE_PGM_RSRC2:USER_SGPR: 6
; COMPUTE_PGM_RSRC2:TRAP_HANDLER: 0
; COMPUTE_PGM_RSRC2:TGID_X_EN: 1
; COMPUTE_PGM_RSRC2:TGID_Y_EN: 1
; COMPUTE_PGM_RSRC2:TGID_Z_EN: 0
; COMPUTE_PGM_RSRC2:TIDIG_COMP_CNT: 1
; COMPUTE_PGM_RSRC3_GFX90A:ACCUM_OFFSET: 4
; COMPUTE_PGM_RSRC3_GFX90A:TG_SPLIT: 0
	.section	.text._ZN9rocsparseL29gebsrmm_small_blockdim_kernelILi2ELi4ELi4ELi16EfEEv20rocsparse_direction_20rocsparse_operation_iiNS_24const_host_device_scalarIT3_EEPKiS7_PKS4_iiS9_lS5_PS4_l21rocsparse_index_base_b,"axG",@progbits,_ZN9rocsparseL29gebsrmm_small_blockdim_kernelILi2ELi4ELi4ELi16EfEEv20rocsparse_direction_20rocsparse_operation_iiNS_24const_host_device_scalarIT3_EEPKiS7_PKS4_iiS9_lS5_PS4_l21rocsparse_index_base_b,comdat
	.globl	_ZN9rocsparseL29gebsrmm_small_blockdim_kernelILi2ELi4ELi4ELi16EfEEv20rocsparse_direction_20rocsparse_operation_iiNS_24const_host_device_scalarIT3_EEPKiS7_PKS4_iiS9_lS5_PS4_l21rocsparse_index_base_b ; -- Begin function _ZN9rocsparseL29gebsrmm_small_blockdim_kernelILi2ELi4ELi4ELi16EfEEv20rocsparse_direction_20rocsparse_operation_iiNS_24const_host_device_scalarIT3_EEPKiS7_PKS4_iiS9_lS5_PS4_l21rocsparse_index_base_b
	.p2align	8
	.type	_ZN9rocsparseL29gebsrmm_small_blockdim_kernelILi2ELi4ELi4ELi16EfEEv20rocsparse_direction_20rocsparse_operation_iiNS_24const_host_device_scalarIT3_EEPKiS7_PKS4_iiS9_lS5_PS4_l21rocsparse_index_base_b,@function
_ZN9rocsparseL29gebsrmm_small_blockdim_kernelILi2ELi4ELi4ELi16EfEEv20rocsparse_direction_20rocsparse_operation_iiNS_24const_host_device_scalarIT3_EEPKiS7_PKS4_iiS9_lS5_PS4_l21rocsparse_index_base_b: ; @_ZN9rocsparseL29gebsrmm_small_blockdim_kernelILi2ELi4ELi4ELi16EfEEv20rocsparse_direction_20rocsparse_operation_iiNS_24const_host_device_scalarIT3_EEPKiS7_PKS4_iiS9_lS5_PS4_l21rocsparse_index_base_b
; %bb.0:
	s_load_dwordx2 s[22:23], s[4:5], 0x60
	s_load_dwordx2 s[20:21], s[4:5], 0x10
	s_load_dwordx4 s[8:11], s[4:5], 0x40
	s_waitcnt lgkmcnt(0)
	s_bitcmp1_b32 s23, 0
	s_cselect_b64 s[2:3], -1, 0
	s_xor_b64 s[0:1], s[2:3], -1
	s_and_b64 vcc, exec, s[2:3]
	s_cbranch_vccnz .LBB5_2
; %bb.1:
	s_load_dword s20, s[20:21], 0x0
.LBB5_2:
	s_andn2_b64 vcc, exec, s[0:1]
	s_cbranch_vccnz .LBB5_4
; %bb.3:
	s_load_dword s10, s[10:11], 0x0
.LBB5_4:
	s_waitcnt lgkmcnt(0)
	v_cmp_eq_f32_e64 s[0:1], s20, 0
	v_cmp_eq_f32_e64 s[2:3], s10, 1.0
	s_and_b64 s[0:1], s[0:1], s[2:3]
	s_mov_b32 s28, 0
	s_and_b64 vcc, exec, s[0:1]
	s_cbranch_vccnz .LBB5_22
; %bb.5:
	s_load_dwordx4 s[16:19], s[4:5], 0x0
	s_mov_b32 s11, 0
	s_waitcnt lgkmcnt(0)
	s_cmp_lt_i32 s6, s18
	s_cselect_b64 s[26:27], -1, 0
	s_cmp_ge_i32 s6, s18
	s_cbranch_scc1 .LBB5_7
; %bb.6:
	s_load_dwordx2 s[2:3], s[4:5], 0x18
	s_mov_b32 s0, s7
	s_ashr_i32 s7, s6, 31
	s_lshl_b64 s[12:13], s[6:7], 2
	s_mov_b32 s7, s0
	s_waitcnt lgkmcnt(0)
	s_add_u32 s0, s2, s12
	s_addc_u32 s1, s3, s13
	s_load_dwordx2 s[0:1], s[0:1], 0x0
	s_waitcnt lgkmcnt(0)
	s_sub_i32 s28, s0, s22
	s_sub_i32 s11, s1, s22
.LBB5_7:
	s_load_dwordx2 s[24:25], s[4:5], 0x50
	v_bfe_u32 v2, v0, 10, 10
	v_and_b32_e32 v6, 0x3ff, v0
	v_lshl_add_u32 v0, s7, 4, v2
	v_ashrrev_i32_e32 v1, 31, v0
	v_cmp_gt_i32_e64 s[0:1], s19, v0
	v_cmp_gt_u32_e64 s[2:3], 2, v6
	s_cmp_ge_i32 s28, s11
	v_mov_b32_e32 v7, 0
	s_cbranch_scc1 .LBB5_18
; %bb.8:
	s_load_dwordx4 s[12:15], s[4:5], 0x20
	s_load_dwordx2 s[36:37], s[4:5], 0x38
	v_cmp_gt_u32_e32 vcc, 4, v6
	s_and_b64 s[18:19], vcc, s[0:1]
	v_cmp_gt_u32_e32 vcc, 4, v2
	v_lshlrev_b64 v[4:5], 2, v[0:1]
	s_and_b64 s[30:31], s[2:3], vcc
	s_waitcnt lgkmcnt(0)
	v_mov_b32_e32 v3, s37
	v_add_co_u32_e32 v8, vcc, s36, v4
	v_addc_co_u32_e32 v9, vcc, v3, v5, vcc
	v_mul_lo_u32 v7, v1, s8
	v_mul_lo_u32 v10, v0, s9
	v_mad_u64_u32 v[4:5], s[34:35], v0, s8, 0
	v_add3_u32 v5, v5, v10, v7
	v_lshlrev_b64 v[4:5], 2, v[4:5]
	v_add_co_u32_e32 v4, vcc, s36, v4
	v_addc_co_u32_e32 v3, vcc, v3, v5, vcc
	v_lshlrev_b32_e32 v5, 2, v6
	s_cmpk_lg_i32 s17, 0x6f
	v_add_co_u32_e32 v11, vcc, v4, v5
	s_cselect_b64 s[34:35], -1, 0
	v_addc_co_u32_e32 v12, vcc, 0, v3, vcc
	s_cmp_eq_u32 s16, 0
	s_cselect_b64 vcc, -1, 0
	s_ashr_i32 s29, s28, 31
	s_lshl_b64 s[16:17], s[28:29], 2
	v_lshlrev_b32_e32 v7, 2, v2
	v_lshlrev_b32_e32 v3, 1, v2
	s_add_u32 s12, s12, s16
	v_add_lshl_u32 v10, v7, v6, 2
	v_lshlrev_b32_e32 v15, 4, v2
	v_cndmask_b32_e32 v3, v3, v5, vcc
	v_cndmask_b32_e32 v2, v6, v2, vcc
	s_addc_u32 s13, s13, s17
	s_lshl_b32 s7, s28, 3
	v_mov_b32_e32 v7, 0
	v_add_u32_e32 v13, 0x100, v10
	v_add_u32_e32 v14, 0x100, v5
	v_add3_u32 v2, v2, v3, s7
	s_branch .LBB5_10
.LBB5_9:                                ;   in Loop: Header=BB5_10 Depth=1
	s_or_b64 exec, exec, s[16:17]
	s_waitcnt lgkmcnt(0)
	; wave barrier
	s_waitcnt lgkmcnt(0)
	ds_read_b128 v[16:19], v15
	ds_read2_b32 v[4:5], v14 offset1:4
	ds_read2_b32 v[20:21], v14 offset0:8 offset1:12
	s_add_i32 s28, s28, 1
	s_add_u32 s12, s12, 4
	s_addc_u32 s13, s13, 0
	s_waitcnt lgkmcnt(1)
	v_fmac_f32_e32 v7, v4, v16
	v_fmac_f32_e32 v7, v5, v17
	s_waitcnt lgkmcnt(0)
	v_fmac_f32_e32 v7, v20, v18
	v_fmac_f32_e32 v7, v21, v19
	s_cmp_ge_i32 s28, s11
	v_add_u32_e32 v2, 8, v2
	s_waitcnt lgkmcnt(0)
	; wave barrier
	s_cbranch_scc1 .LBB5_18
.LBB5_10:                               ; =>This Inner Loop Header: Depth=1
	v_mov_b32_e32 v3, 0
	s_and_saveexec_b64 s[16:17], s[18:19]
	s_cbranch_execz .LBB5_16
; %bb.11:                               ;   in Loop: Header=BB5_10 Depth=1
	s_load_dword s7, s[12:13], 0x0
	s_and_b64 vcc, exec, s[34:35]
	s_waitcnt lgkmcnt(0)
	s_sub_i32 s7, s7, s22
	s_lshl_b32 s36, s7, 2
	s_cbranch_vccz .LBB5_13
; %bb.12:                               ;   in Loop: Header=BB5_10 Depth=1
	v_or_b32_e32 v3, s36, v6
	s_ashr_i32 s7, s36, 31
	v_mul_lo_u32 v16, v3, s9
	s_mul_i32 s7, s7, s8
	v_mad_u64_u32 v[4:5], s[38:39], v3, s8, 0
	v_add3_u32 v5, v5, v16, s7
	v_lshlrev_b64 v[4:5], 2, v[4:5]
	v_add_co_u32_e32 v4, vcc, v8, v4
	v_addc_co_u32_e32 v5, vcc, v9, v5, vcc
	s_cbranch_execz .LBB5_14
	s_branch .LBB5_15
.LBB5_13:                               ;   in Loop: Header=BB5_10 Depth=1
                                        ; implicit-def: $vgpr4_vgpr5
.LBB5_14:                               ;   in Loop: Header=BB5_10 Depth=1
	s_ashr_i32 s37, s36, 31
	s_lshl_b64 s[36:37], s[36:37], 2
	v_mov_b32_e32 v3, s37
	v_add_co_u32_e32 v4, vcc, s36, v11
	v_addc_co_u32_e32 v5, vcc, v12, v3, vcc
.LBB5_15:                               ;   in Loop: Header=BB5_10 Depth=1
	global_load_dword v3, v[4:5], off
.LBB5_16:                               ;   in Loop: Header=BB5_10 Depth=1
	s_or_b64 exec, exec, s[16:17]
	s_waitcnt vmcnt(0)
	ds_write_b32 v10, v3
	s_and_saveexec_b64 s[16:17], s[30:31]
	s_cbranch_execz .LBB5_9
; %bb.17:                               ;   in Loop: Header=BB5_10 Depth=1
	v_ashrrev_i32_e32 v3, 31, v2
	v_lshlrev_b64 v[4:5], 2, v[2:3]
	v_mov_b32_e32 v3, s15
	v_add_co_u32_e32 v4, vcc, s14, v4
	v_addc_co_u32_e32 v5, vcc, v3, v5, vcc
	global_load_dword v3, v[4:5], off
	s_waitcnt vmcnt(0)
	ds_write_b32 v13, v3
	s_branch .LBB5_9
.LBB5_18:
	s_and_b64 s[0:1], s[2:3], s[0:1]
	s_and_b64 s[0:1], s[26:27], s[0:1]
	s_and_saveexec_b64 s[2:3], s[0:1]
	s_cbranch_execz .LBB5_22
; %bb.19:
	s_load_dwordx2 s[0:1], s[4:5], 0x58
	v_lshl_add_u32 v2, s6, 1, v6
	s_waitcnt lgkmcnt(0)
	v_mul_lo_u32 v3, v1, s0
	v_mul_lo_u32 v4, v0, s1
	v_mad_u64_u32 v[0:1], s[0:1], v0, s0, 0
	v_add3_u32 v1, v1, v4, v3
	v_cmp_neq_f32_e64 s[0:1], s10, 0
	s_and_b64 vcc, exec, s[0:1]
	v_ashrrev_i32_e32 v3, 31, v2
	v_mul_f32_e32 v4, s20, v7
	v_lshlrev_b64 v[0:1], 2, v[0:1]
	s_cbranch_vccz .LBB5_23
; %bb.20:
	v_mov_b32_e32 v5, s25
	v_add_co_u32_e32 v8, vcc, s24, v0
	v_addc_co_u32_e32 v5, vcc, v5, v1, vcc
	v_lshlrev_b64 v[6:7], 2, v[2:3]
	v_add_co_u32_e32 v6, vcc, v8, v6
	v_addc_co_u32_e32 v7, vcc, v5, v7, vcc
	global_load_dword v5, v[6:7], off
	s_waitcnt vmcnt(0)
	v_fma_f32 v5, s10, v5, v4
	global_store_dword v[6:7], v5, off
	s_cbranch_execnz .LBB5_22
.LBB5_21:
	v_mov_b32_e32 v5, s25
	v_add_co_u32_e32 v6, vcc, s24, v0
	v_addc_co_u32_e32 v5, vcc, v5, v1, vcc
	v_lshlrev_b64 v[0:1], 2, v[2:3]
	v_add_co_u32_e32 v0, vcc, v6, v0
	v_addc_co_u32_e32 v1, vcc, v5, v1, vcc
	global_store_dword v[0:1], v4, off
.LBB5_22:
	s_endpgm
.LBB5_23:
	s_branch .LBB5_21
	.section	.rodata,"a",@progbits
	.p2align	6, 0x0
	.amdhsa_kernel _ZN9rocsparseL29gebsrmm_small_blockdim_kernelILi2ELi4ELi4ELi16EfEEv20rocsparse_direction_20rocsparse_operation_iiNS_24const_host_device_scalarIT3_EEPKiS7_PKS4_iiS9_lS5_PS4_l21rocsparse_index_base_b
		.amdhsa_group_segment_fixed_size 320
		.amdhsa_private_segment_fixed_size 0
		.amdhsa_kernarg_size 104
		.amdhsa_user_sgpr_count 6
		.amdhsa_user_sgpr_private_segment_buffer 1
		.amdhsa_user_sgpr_dispatch_ptr 0
		.amdhsa_user_sgpr_queue_ptr 0
		.amdhsa_user_sgpr_kernarg_segment_ptr 1
		.amdhsa_user_sgpr_dispatch_id 0
		.amdhsa_user_sgpr_flat_scratch_init 0
		.amdhsa_user_sgpr_kernarg_preload_length 0
		.amdhsa_user_sgpr_kernarg_preload_offset 0
		.amdhsa_user_sgpr_private_segment_size 0
		.amdhsa_uses_dynamic_stack 0
		.amdhsa_system_sgpr_private_segment_wavefront_offset 0
		.amdhsa_system_sgpr_workgroup_id_x 1
		.amdhsa_system_sgpr_workgroup_id_y 1
		.amdhsa_system_sgpr_workgroup_id_z 0
		.amdhsa_system_sgpr_workgroup_info 0
		.amdhsa_system_vgpr_workitem_id 1
		.amdhsa_next_free_vgpr 22
		.amdhsa_next_free_sgpr 40
		.amdhsa_accum_offset 24
		.amdhsa_reserve_vcc 1
		.amdhsa_reserve_flat_scratch 0
		.amdhsa_float_round_mode_32 0
		.amdhsa_float_round_mode_16_64 0
		.amdhsa_float_denorm_mode_32 3
		.amdhsa_float_denorm_mode_16_64 3
		.amdhsa_dx10_clamp 1
		.amdhsa_ieee_mode 1
		.amdhsa_fp16_overflow 0
		.amdhsa_tg_split 0
		.amdhsa_exception_fp_ieee_invalid_op 0
		.amdhsa_exception_fp_denorm_src 0
		.amdhsa_exception_fp_ieee_div_zero 0
		.amdhsa_exception_fp_ieee_overflow 0
		.amdhsa_exception_fp_ieee_underflow 0
		.amdhsa_exception_fp_ieee_inexact 0
		.amdhsa_exception_int_div_zero 0
	.end_amdhsa_kernel
	.section	.text._ZN9rocsparseL29gebsrmm_small_blockdim_kernelILi2ELi4ELi4ELi16EfEEv20rocsparse_direction_20rocsparse_operation_iiNS_24const_host_device_scalarIT3_EEPKiS7_PKS4_iiS9_lS5_PS4_l21rocsparse_index_base_b,"axG",@progbits,_ZN9rocsparseL29gebsrmm_small_blockdim_kernelILi2ELi4ELi4ELi16EfEEv20rocsparse_direction_20rocsparse_operation_iiNS_24const_host_device_scalarIT3_EEPKiS7_PKS4_iiS9_lS5_PS4_l21rocsparse_index_base_b,comdat
.Lfunc_end5:
	.size	_ZN9rocsparseL29gebsrmm_small_blockdim_kernelILi2ELi4ELi4ELi16EfEEv20rocsparse_direction_20rocsparse_operation_iiNS_24const_host_device_scalarIT3_EEPKiS7_PKS4_iiS9_lS5_PS4_l21rocsparse_index_base_b, .Lfunc_end5-_ZN9rocsparseL29gebsrmm_small_blockdim_kernelILi2ELi4ELi4ELi16EfEEv20rocsparse_direction_20rocsparse_operation_iiNS_24const_host_device_scalarIT3_EEPKiS7_PKS4_iiS9_lS5_PS4_l21rocsparse_index_base_b
                                        ; -- End function
	.section	.AMDGPU.csdata,"",@progbits
; Kernel info:
; codeLenInByte = 964
; NumSgprs: 44
; NumVgprs: 22
; NumAgprs: 0
; TotalNumVgprs: 22
; ScratchSize: 0
; MemoryBound: 0
; FloatMode: 240
; IeeeMode: 1
; LDSByteSize: 320 bytes/workgroup (compile time only)
; SGPRBlocks: 5
; VGPRBlocks: 2
; NumSGPRsForWavesPerEU: 44
; NumVGPRsForWavesPerEU: 22
; AccumOffset: 24
; Occupancy: 8
; WaveLimiterHint : 0
; COMPUTE_PGM_RSRC2:SCRATCH_EN: 0
; COMPUTE_PGM_RSRC2:USER_SGPR: 6
; COMPUTE_PGM_RSRC2:TRAP_HANDLER: 0
; COMPUTE_PGM_RSRC2:TGID_X_EN: 1
; COMPUTE_PGM_RSRC2:TGID_Y_EN: 1
; COMPUTE_PGM_RSRC2:TGID_Z_EN: 0
; COMPUTE_PGM_RSRC2:TIDIG_COMP_CNT: 1
; COMPUTE_PGM_RSRC3_GFX90A:ACCUM_OFFSET: 5
; COMPUTE_PGM_RSRC3_GFX90A:TG_SPLIT: 0
	.section	.text._ZN9rocsparseL29gebsrmm_small_blockdim_kernelILi3ELi1ELi3ELi16EfEEv20rocsparse_direction_20rocsparse_operation_iiNS_24const_host_device_scalarIT3_EEPKiS7_PKS4_iiS9_lS5_PS4_l21rocsparse_index_base_b,"axG",@progbits,_ZN9rocsparseL29gebsrmm_small_blockdim_kernelILi3ELi1ELi3ELi16EfEEv20rocsparse_direction_20rocsparse_operation_iiNS_24const_host_device_scalarIT3_EEPKiS7_PKS4_iiS9_lS5_PS4_l21rocsparse_index_base_b,comdat
	.globl	_ZN9rocsparseL29gebsrmm_small_blockdim_kernelILi3ELi1ELi3ELi16EfEEv20rocsparse_direction_20rocsparse_operation_iiNS_24const_host_device_scalarIT3_EEPKiS7_PKS4_iiS9_lS5_PS4_l21rocsparse_index_base_b ; -- Begin function _ZN9rocsparseL29gebsrmm_small_blockdim_kernelILi3ELi1ELi3ELi16EfEEv20rocsparse_direction_20rocsparse_operation_iiNS_24const_host_device_scalarIT3_EEPKiS7_PKS4_iiS9_lS5_PS4_l21rocsparse_index_base_b
	.p2align	8
	.type	_ZN9rocsparseL29gebsrmm_small_blockdim_kernelILi3ELi1ELi3ELi16EfEEv20rocsparse_direction_20rocsparse_operation_iiNS_24const_host_device_scalarIT3_EEPKiS7_PKS4_iiS9_lS5_PS4_l21rocsparse_index_base_b,@function
_ZN9rocsparseL29gebsrmm_small_blockdim_kernelILi3ELi1ELi3ELi16EfEEv20rocsparse_direction_20rocsparse_operation_iiNS_24const_host_device_scalarIT3_EEPKiS7_PKS4_iiS9_lS5_PS4_l21rocsparse_index_base_b: ; @_ZN9rocsparseL29gebsrmm_small_blockdim_kernelILi3ELi1ELi3ELi16EfEEv20rocsparse_direction_20rocsparse_operation_iiNS_24const_host_device_scalarIT3_EEPKiS7_PKS4_iiS9_lS5_PS4_l21rocsparse_index_base_b
; %bb.0:
	s_load_dwordx2 s[22:23], s[4:5], 0x60
	s_load_dwordx2 s[20:21], s[4:5], 0x10
	s_load_dwordx4 s[8:11], s[4:5], 0x40
	s_waitcnt lgkmcnt(0)
	s_bitcmp1_b32 s23, 0
	s_cselect_b64 s[2:3], -1, 0
	s_xor_b64 s[0:1], s[2:3], -1
	s_and_b64 vcc, exec, s[2:3]
	s_cbranch_vccnz .LBB6_2
; %bb.1:
	s_load_dword s20, s[20:21], 0x0
.LBB6_2:
	s_andn2_b64 vcc, exec, s[0:1]
	s_cbranch_vccnz .LBB6_4
; %bb.3:
	s_load_dword s10, s[10:11], 0x0
.LBB6_4:
	s_waitcnt lgkmcnt(0)
	v_cmp_eq_f32_e64 s[0:1], s20, 0
	v_cmp_eq_f32_e64 s[2:3], s10, 1.0
	s_and_b64 s[0:1], s[0:1], s[2:3]
	s_mov_b32 s28, 0
	s_and_b64 vcc, exec, s[0:1]
	s_cbranch_vccnz .LBB6_22
; %bb.5:
	s_load_dwordx4 s[16:19], s[4:5], 0x4
	s_mov_b32 s11, 0
	s_waitcnt lgkmcnt(0)
	s_cmp_lt_i32 s6, s17
	s_cselect_b64 s[26:27], -1, 0
	s_cmp_ge_i32 s6, s17
	s_cbranch_scc1 .LBB6_7
; %bb.6:
	s_load_dwordx2 s[2:3], s[4:5], 0x18
	s_mov_b32 s0, s7
	s_ashr_i32 s7, s6, 31
	s_lshl_b64 s[12:13], s[6:7], 2
	s_mov_b32 s7, s0
	s_waitcnt lgkmcnt(0)
	s_add_u32 s0, s2, s12
	s_addc_u32 s1, s3, s13
	s_load_dwordx2 s[0:1], s[0:1], 0x0
	s_waitcnt lgkmcnt(0)
	s_sub_i32 s28, s0, s22
	s_sub_i32 s11, s1, s22
.LBB6_7:
	s_load_dwordx2 s[24:25], s[4:5], 0x50
	v_bfe_u32 v4, v0, 10, 10
	v_and_b32_e32 v2, 0x3ff, v0
	v_lshl_add_u32 v0, s7, 4, v4
	v_ashrrev_i32_e32 v1, 31, v0
	v_cmp_gt_i32_e64 s[0:1], s18, v0
	v_cmp_gt_u32_e64 s[2:3], 3, v2
	s_cmp_ge_i32 s28, s11
	v_mov_b32_e32 v8, 0
	s_cbranch_scc1 .LBB6_18
; %bb.8:
	s_load_dwordx4 s[12:15], s[4:5], 0x20
	s_load_dwordx2 s[34:35], s[4:5], 0x38
	v_cmp_eq_u32_e32 vcc, 0, v2
	s_and_b64 s[18:19], vcc, s[0:1]
	v_cmp_eq_u32_e32 vcc, 0, v4
	v_lshlrev_b64 v[6:7], 2, v[0:1]
	s_and_b64 s[30:31], s[2:3], vcc
	s_waitcnt lgkmcnt(0)
	v_mov_b32_e32 v8, s35
	v_add_co_u32_e32 v3, vcc, s34, v6
	v_addc_co_u32_e32 v9, vcc, v8, v7, vcc
	v_mul_lo_u32 v5, v1, s8
	v_mul_lo_u32 v10, v0, s9
	v_mad_u64_u32 v[6:7], s[36:37], v0, s8, 0
	v_add3_u32 v7, v7, v10, v5
	s_cmpk_lg_i32 s16, 0x6f
	v_mul_u32_u24_e32 v15, 3, v4
	s_cselect_b64 s[16:17], -1, 0
	v_lshlrev_b64 v[4:5], 2, v[6:7]
	s_ashr_i32 s29, s28, 31
	v_add_co_u32_e32 v11, vcc, s34, v4
	s_lshl_b64 s[34:35], s[28:29], 2
	v_add_lshl_u32 v10, v15, v2, 2
	v_mov_b32_e32 v4, 0xc0
	s_add_u32 s12, s12, s34
	v_addc_co_u32_e32 v12, vcc, v8, v5, vcc
	v_add_u32_e32 v13, 0xc0, v10
	v_lshl_add_u32 v14, v2, 2, v4
	v_lshlrev_b32_e32 v15, 2, v15
	s_addc_u32 s13, s13, s35
	v_mad_u64_u32 v[4:5], s[34:35], s28, 3, v[2:3]
	v_mov_b32_e32 v8, 0
	s_branch .LBB6_10
.LBB6_9:                                ;   in Loop: Header=BB6_10 Depth=1
	s_or_b64 exec, exec, s[34:35]
	s_waitcnt lgkmcnt(0)
	; wave barrier
	s_waitcnt lgkmcnt(0)
	ds_read_b32 v5, v14
	ds_read_b32 v6, v15
	s_add_i32 s28, s28, 1
	s_add_u32 s12, s12, 4
	s_addc_u32 s13, s13, 0
	s_cmp_ge_i32 s28, s11
	s_waitcnt lgkmcnt(0)
	v_fmac_f32_e32 v8, v5, v6
	v_add_u32_e32 v4, 3, v4
	s_waitcnt lgkmcnt(0)
	; wave barrier
	s_cbranch_scc1 .LBB6_18
.LBB6_10:                               ; =>This Inner Loop Header: Depth=1
	v_mov_b32_e32 v5, 0
	s_and_saveexec_b64 s[34:35], s[18:19]
	s_cbranch_execz .LBB6_16
; %bb.11:                               ;   in Loop: Header=BB6_10 Depth=1
	s_load_dword s7, s[12:13], 0x0
	s_and_b64 vcc, exec, s[16:17]
	s_waitcnt lgkmcnt(0)
	s_sub_i32 s36, s7, s22
	s_ashr_i32 s37, s36, 31
	s_cbranch_vccz .LBB6_13
; %bb.12:                               ;   in Loop: Header=BB6_10 Depth=1
	s_mul_i32 s7, s36, s9
	s_mul_hi_u32 s21, s36, s8
	s_add_i32 s7, s21, s7
	s_mul_i32 s21, s37, s8
	s_add_i32 s39, s7, s21
	s_mul_i32 s38, s36, s8
	s_lshl_b64 s[38:39], s[38:39], 2
	v_mov_b32_e32 v5, s39
	v_add_co_u32_e32 v6, vcc, s38, v3
	v_addc_co_u32_e32 v7, vcc, v9, v5, vcc
	s_cbranch_execz .LBB6_14
	s_branch .LBB6_15
.LBB6_13:                               ;   in Loop: Header=BB6_10 Depth=1
                                        ; implicit-def: $vgpr6_vgpr7
.LBB6_14:                               ;   in Loop: Header=BB6_10 Depth=1
	s_lshl_b64 s[36:37], s[36:37], 2
	v_mov_b32_e32 v5, s37
	v_add_co_u32_e32 v6, vcc, s36, v11
	v_addc_co_u32_e32 v7, vcc, v12, v5, vcc
.LBB6_15:                               ;   in Loop: Header=BB6_10 Depth=1
	global_load_dword v5, v[6:7], off
.LBB6_16:                               ;   in Loop: Header=BB6_10 Depth=1
	s_or_b64 exec, exec, s[34:35]
	s_waitcnt vmcnt(0)
	ds_write_b32 v10, v5
	s_and_saveexec_b64 s[34:35], s[30:31]
	s_cbranch_execz .LBB6_9
; %bb.17:                               ;   in Loop: Header=BB6_10 Depth=1
	v_ashrrev_i32_e32 v5, 31, v4
	v_lshlrev_b64 v[6:7], 2, v[4:5]
	v_mov_b32_e32 v5, s15
	v_add_co_u32_e32 v6, vcc, s14, v6
	v_addc_co_u32_e32 v7, vcc, v5, v7, vcc
	global_load_dword v5, v[6:7], off
	s_waitcnt vmcnt(0)
	ds_write_b32 v13, v5
	s_branch .LBB6_9
.LBB6_18:
	s_and_b64 s[0:1], s[2:3], s[0:1]
	s_and_b64 s[0:1], s[26:27], s[0:1]
	s_and_saveexec_b64 s[2:3], s[0:1]
	s_cbranch_execz .LBB6_22
; %bb.19:
	s_load_dwordx2 s[0:1], s[4:5], 0x58
	v_mad_u64_u32 v[2:3], s[2:3], s6, 3, v[2:3]
	s_waitcnt lgkmcnt(0)
	v_mul_lo_u32 v3, v1, s0
	v_mul_lo_u32 v4, v0, s1
	v_mad_u64_u32 v[0:1], s[0:1], v0, s0, 0
	v_add3_u32 v1, v1, v4, v3
	v_cmp_neq_f32_e64 s[0:1], s10, 0
	s_and_b64 vcc, exec, s[0:1]
	v_ashrrev_i32_e32 v3, 31, v2
	v_mul_f32_e32 v4, s20, v8
	v_lshlrev_b64 v[0:1], 2, v[0:1]
	s_cbranch_vccz .LBB6_23
; %bb.20:
	v_mov_b32_e32 v5, s25
	v_add_co_u32_e32 v8, vcc, s24, v0
	v_addc_co_u32_e32 v5, vcc, v5, v1, vcc
	v_lshlrev_b64 v[6:7], 2, v[2:3]
	v_add_co_u32_e32 v6, vcc, v8, v6
	v_addc_co_u32_e32 v7, vcc, v5, v7, vcc
	global_load_dword v5, v[6:7], off
	s_waitcnt vmcnt(0)
	v_fma_f32 v5, s10, v5, v4
	global_store_dword v[6:7], v5, off
	s_cbranch_execnz .LBB6_22
.LBB6_21:
	v_mov_b32_e32 v5, s25
	v_add_co_u32_e32 v6, vcc, s24, v0
	v_addc_co_u32_e32 v5, vcc, v5, v1, vcc
	v_lshlrev_b64 v[0:1], 2, v[2:3]
	v_add_co_u32_e32 v0, vcc, v6, v0
	v_addc_co_u32_e32 v1, vcc, v5, v1, vcc
	global_store_dword v[0:1], v4, off
.LBB6_22:
	s_endpgm
.LBB6_23:
	s_branch .LBB6_21
	.section	.rodata,"a",@progbits
	.p2align	6, 0x0
	.amdhsa_kernel _ZN9rocsparseL29gebsrmm_small_blockdim_kernelILi3ELi1ELi3ELi16EfEEv20rocsparse_direction_20rocsparse_operation_iiNS_24const_host_device_scalarIT3_EEPKiS7_PKS4_iiS9_lS5_PS4_l21rocsparse_index_base_b
		.amdhsa_group_segment_fixed_size 228
		.amdhsa_private_segment_fixed_size 0
		.amdhsa_kernarg_size 104
		.amdhsa_user_sgpr_count 6
		.amdhsa_user_sgpr_private_segment_buffer 1
		.amdhsa_user_sgpr_dispatch_ptr 0
		.amdhsa_user_sgpr_queue_ptr 0
		.amdhsa_user_sgpr_kernarg_segment_ptr 1
		.amdhsa_user_sgpr_dispatch_id 0
		.amdhsa_user_sgpr_flat_scratch_init 0
		.amdhsa_user_sgpr_kernarg_preload_length 0
		.amdhsa_user_sgpr_kernarg_preload_offset 0
		.amdhsa_user_sgpr_private_segment_size 0
		.amdhsa_uses_dynamic_stack 0
		.amdhsa_system_sgpr_private_segment_wavefront_offset 0
		.amdhsa_system_sgpr_workgroup_id_x 1
		.amdhsa_system_sgpr_workgroup_id_y 1
		.amdhsa_system_sgpr_workgroup_id_z 0
		.amdhsa_system_sgpr_workgroup_info 0
		.amdhsa_system_vgpr_workitem_id 1
		.amdhsa_next_free_vgpr 16
		.amdhsa_next_free_sgpr 40
		.amdhsa_accum_offset 16
		.amdhsa_reserve_vcc 1
		.amdhsa_reserve_flat_scratch 0
		.amdhsa_float_round_mode_32 0
		.amdhsa_float_round_mode_16_64 0
		.amdhsa_float_denorm_mode_32 3
		.amdhsa_float_denorm_mode_16_64 3
		.amdhsa_dx10_clamp 1
		.amdhsa_ieee_mode 1
		.amdhsa_fp16_overflow 0
		.amdhsa_tg_split 0
		.amdhsa_exception_fp_ieee_invalid_op 0
		.amdhsa_exception_fp_denorm_src 0
		.amdhsa_exception_fp_ieee_div_zero 0
		.amdhsa_exception_fp_ieee_overflow 0
		.amdhsa_exception_fp_ieee_underflow 0
		.amdhsa_exception_fp_ieee_inexact 0
		.amdhsa_exception_int_div_zero 0
	.end_amdhsa_kernel
	.section	.text._ZN9rocsparseL29gebsrmm_small_blockdim_kernelILi3ELi1ELi3ELi16EfEEv20rocsparse_direction_20rocsparse_operation_iiNS_24const_host_device_scalarIT3_EEPKiS7_PKS4_iiS9_lS5_PS4_l21rocsparse_index_base_b,"axG",@progbits,_ZN9rocsparseL29gebsrmm_small_blockdim_kernelILi3ELi1ELi3ELi16EfEEv20rocsparse_direction_20rocsparse_operation_iiNS_24const_host_device_scalarIT3_EEPKiS7_PKS4_iiS9_lS5_PS4_l21rocsparse_index_base_b,comdat
.Lfunc_end6:
	.size	_ZN9rocsparseL29gebsrmm_small_blockdim_kernelILi3ELi1ELi3ELi16EfEEv20rocsparse_direction_20rocsparse_operation_iiNS_24const_host_device_scalarIT3_EEPKiS7_PKS4_iiS9_lS5_PS4_l21rocsparse_index_base_b, .Lfunc_end6-_ZN9rocsparseL29gebsrmm_small_blockdim_kernelILi3ELi1ELi3ELi16EfEEv20rocsparse_direction_20rocsparse_operation_iiNS_24const_host_device_scalarIT3_EEPKiS7_PKS4_iiS9_lS5_PS4_l21rocsparse_index_base_b
                                        ; -- End function
	.section	.AMDGPU.csdata,"",@progbits
; Kernel info:
; codeLenInByte = 896
; NumSgprs: 44
; NumVgprs: 16
; NumAgprs: 0
; TotalNumVgprs: 16
; ScratchSize: 0
; MemoryBound: 0
; FloatMode: 240
; IeeeMode: 1
; LDSByteSize: 228 bytes/workgroup (compile time only)
; SGPRBlocks: 5
; VGPRBlocks: 1
; NumSGPRsForWavesPerEU: 44
; NumVGPRsForWavesPerEU: 16
; AccumOffset: 16
; Occupancy: 8
; WaveLimiterHint : 0
; COMPUTE_PGM_RSRC2:SCRATCH_EN: 0
; COMPUTE_PGM_RSRC2:USER_SGPR: 6
; COMPUTE_PGM_RSRC2:TRAP_HANDLER: 0
; COMPUTE_PGM_RSRC2:TGID_X_EN: 1
; COMPUTE_PGM_RSRC2:TGID_Y_EN: 1
; COMPUTE_PGM_RSRC2:TGID_Z_EN: 0
; COMPUTE_PGM_RSRC2:TIDIG_COMP_CNT: 1
; COMPUTE_PGM_RSRC3_GFX90A:ACCUM_OFFSET: 3
; COMPUTE_PGM_RSRC3_GFX90A:TG_SPLIT: 0
	.section	.text._ZN9rocsparseL29gebsrmm_small_blockdim_kernelILi3ELi2ELi3ELi16EfEEv20rocsparse_direction_20rocsparse_operation_iiNS_24const_host_device_scalarIT3_EEPKiS7_PKS4_iiS9_lS5_PS4_l21rocsparse_index_base_b,"axG",@progbits,_ZN9rocsparseL29gebsrmm_small_blockdim_kernelILi3ELi2ELi3ELi16EfEEv20rocsparse_direction_20rocsparse_operation_iiNS_24const_host_device_scalarIT3_EEPKiS7_PKS4_iiS9_lS5_PS4_l21rocsparse_index_base_b,comdat
	.globl	_ZN9rocsparseL29gebsrmm_small_blockdim_kernelILi3ELi2ELi3ELi16EfEEv20rocsparse_direction_20rocsparse_operation_iiNS_24const_host_device_scalarIT3_EEPKiS7_PKS4_iiS9_lS5_PS4_l21rocsparse_index_base_b ; -- Begin function _ZN9rocsparseL29gebsrmm_small_blockdim_kernelILi3ELi2ELi3ELi16EfEEv20rocsparse_direction_20rocsparse_operation_iiNS_24const_host_device_scalarIT3_EEPKiS7_PKS4_iiS9_lS5_PS4_l21rocsparse_index_base_b
	.p2align	8
	.type	_ZN9rocsparseL29gebsrmm_small_blockdim_kernelILi3ELi2ELi3ELi16EfEEv20rocsparse_direction_20rocsparse_operation_iiNS_24const_host_device_scalarIT3_EEPKiS7_PKS4_iiS9_lS5_PS4_l21rocsparse_index_base_b,@function
_ZN9rocsparseL29gebsrmm_small_blockdim_kernelILi3ELi2ELi3ELi16EfEEv20rocsparse_direction_20rocsparse_operation_iiNS_24const_host_device_scalarIT3_EEPKiS7_PKS4_iiS9_lS5_PS4_l21rocsparse_index_base_b: ; @_ZN9rocsparseL29gebsrmm_small_blockdim_kernelILi3ELi2ELi3ELi16EfEEv20rocsparse_direction_20rocsparse_operation_iiNS_24const_host_device_scalarIT3_EEPKiS7_PKS4_iiS9_lS5_PS4_l21rocsparse_index_base_b
; %bb.0:
	s_load_dwordx2 s[22:23], s[4:5], 0x60
	s_load_dwordx2 s[20:21], s[4:5], 0x10
	s_load_dwordx4 s[12:15], s[4:5], 0x40
	s_waitcnt lgkmcnt(0)
	s_bitcmp1_b32 s23, 0
	s_cselect_b64 s[2:3], -1, 0
	s_xor_b64 s[0:1], s[2:3], -1
	s_and_b64 vcc, exec, s[2:3]
	s_cbranch_vccnz .LBB7_2
; %bb.1:
	s_load_dword s20, s[20:21], 0x0
.LBB7_2:
	s_andn2_b64 vcc, exec, s[0:1]
	s_cbranch_vccnz .LBB7_4
; %bb.3:
	s_load_dword s14, s[14:15], 0x0
.LBB7_4:
	s_waitcnt lgkmcnt(0)
	v_cmp_eq_f32_e64 s[0:1], s20, 0
	v_cmp_eq_f32_e64 s[2:3], s14, 1.0
	s_and_b64 s[0:1], s[0:1], s[2:3]
	s_mov_b32 s28, 0
	s_and_b64 vcc, exec, s[0:1]
	s_cbranch_vccnz .LBB7_22
; %bb.5:
	s_load_dwordx4 s[8:11], s[4:5], 0x0
	s_mov_b32 s15, 0
	s_waitcnt lgkmcnt(0)
	s_cmp_lt_i32 s6, s10
	s_cselect_b64 s[26:27], -1, 0
	s_cmp_ge_i32 s6, s10
	s_cbranch_scc1 .LBB7_7
; %bb.6:
	s_load_dwordx2 s[2:3], s[4:5], 0x18
	s_mov_b32 s0, s7
	s_ashr_i32 s7, s6, 31
	s_lshl_b64 s[16:17], s[6:7], 2
	s_mov_b32 s7, s0
	s_waitcnt lgkmcnt(0)
	s_add_u32 s0, s2, s16
	s_addc_u32 s1, s3, s17
	s_load_dwordx2 s[0:1], s[0:1], 0x0
	s_waitcnt lgkmcnt(0)
	s_sub_i32 s28, s0, s22
	s_sub_i32 s15, s1, s22
.LBB7_7:
	s_load_dwordx2 s[24:25], s[4:5], 0x50
	v_bfe_u32 v4, v0, 10, 10
	v_and_b32_e32 v2, 0x3ff, v0
	v_lshl_add_u32 v0, s7, 4, v4
	v_ashrrev_i32_e32 v1, 31, v0
	v_cmp_gt_i32_e64 s[0:1], s11, v0
	v_cmp_gt_u32_e64 s[2:3], 3, v2
	s_cmp_ge_i32 s28, s15
	v_mov_b32_e32 v6, 0
	s_cbranch_scc1 .LBB7_18
; %bb.8:
	s_load_dwordx4 s[16:19], s[4:5], 0x20
	s_load_dwordx2 s[36:37], s[4:5], 0x38
	v_cmp_gt_u32_e32 vcc, 2, v2
	s_and_b64 s[10:11], vcc, s[0:1]
	v_cmp_gt_u32_e32 vcc, 2, v4
	v_lshlrev_b64 v[6:7], 2, v[0:1]
	s_and_b64 s[30:31], s[2:3], vcc
	s_waitcnt lgkmcnt(0)
	v_add_co_u32_e32 v3, vcc, s36, v6
	v_mul_lo_u32 v6, v1, s12
	v_mul_lo_u32 v8, v0, s13
	v_mad_u64_u32 v[10:11], s[34:35], v0, s12, 0
	v_mov_b32_e32 v5, s37
	v_add3_u32 v11, v11, v8, v6
	v_addc_co_u32_e32 v7, vcc, v5, v7, vcc
	s_cmpk_lg_i32 s9, 0x6f
	v_lshlrev_b64 v[10:11], 2, v[10:11]
	s_cselect_b64 s[34:35], -1, 0
	v_add_co_u32_e32 v9, vcc, s36, v10
	s_cmp_eq_u32 s8, 0
	v_addc_co_u32_e32 v5, vcc, v5, v11, vcc
	v_lshlrev_b32_e32 v12, 2, v2
	s_cselect_b64 s[8:9], -1, 0
	s_ashr_i32 s29, s28, 31
	v_mad_u32_u24 v14, v4, 3, v2
	v_add_co_u32_e32 v9, vcc, v9, v12
	s_lshl_b64 s[36:37], s[28:29], 2
	v_mul_u32_u24_e32 v13, 3, v4
	v_lshlrev_b32_e32 v8, 2, v14
	v_addc_co_u32_e32 v10, vcc, 0, v5, vcc
	v_lshlrev_b32_e32 v5, 1, v2
	s_add_u32 s16, s16, s36
	s_mul_i32 s7, s28, 6
	v_mov_b32_e32 v6, 0
	v_add_u32_e32 v11, 0xc0, v8
	v_add_u32_e32 v12, 0xc0, v12
	v_lshlrev_b32_e32 v13, 2, v13
	s_addc_u32 s17, s17, s37
	v_add_u32_e32 v14, s7, v14
	v_add3_u32 v15, v4, s7, v5
	s_branch .LBB7_10
.LBB7_9:                                ;   in Loop: Header=BB7_10 Depth=1
	s_or_b64 exec, exec, s[36:37]
	s_waitcnt lgkmcnt(0)
	; wave barrier
	s_waitcnt lgkmcnt(0)
	ds_read2_b32 v[4:5], v13 offset1:1
	ds_read2_b32 v[16:17], v12 offset1:3
	s_add_i32 s28, s28, 1
	s_add_u32 s16, s16, 4
	s_addc_u32 s17, s17, 0
	v_add_u32_e32 v14, 6, v14
	s_waitcnt lgkmcnt(0)
	v_fmac_f32_e32 v6, v16, v4
	v_fmac_f32_e32 v6, v17, v5
	s_cmp_ge_i32 s28, s15
	v_add_u32_e32 v15, 6, v15
	s_waitcnt lgkmcnt(0)
	; wave barrier
	s_cbranch_scc1 .LBB7_18
.LBB7_10:                               ; =>This Inner Loop Header: Depth=1
	v_mov_b32_e32 v4, 0
	s_and_saveexec_b64 s[36:37], s[10:11]
	s_cbranch_execz .LBB7_16
; %bb.11:                               ;   in Loop: Header=BB7_10 Depth=1
	s_load_dword s7, s[16:17], 0x0
	s_and_b64 vcc, exec, s[34:35]
	s_waitcnt lgkmcnt(0)
	s_sub_i32 s7, s7, s22
	s_lshl_b32 s38, s7, 1
	s_cbranch_vccz .LBB7_13
; %bb.12:                               ;   in Loop: Header=BB7_10 Depth=1
	v_or_b32_e32 v4, s38, v2
	s_ashr_i32 s7, s38, 31
	v_mul_lo_u32 v16, v4, s13
	s_mul_i32 s7, s7, s12
	v_mad_u64_u32 v[4:5], s[40:41], v4, s12, 0
	v_add3_u32 v5, v5, v16, s7
	v_lshlrev_b64 v[4:5], 2, v[4:5]
	v_add_co_u32_e32 v4, vcc, v3, v4
	v_addc_co_u32_e32 v5, vcc, v7, v5, vcc
	s_cbranch_execz .LBB7_14
	s_branch .LBB7_15
.LBB7_13:                               ;   in Loop: Header=BB7_10 Depth=1
                                        ; implicit-def: $vgpr4_vgpr5
.LBB7_14:                               ;   in Loop: Header=BB7_10 Depth=1
	s_ashr_i32 s39, s38, 31
	s_lshl_b64 s[38:39], s[38:39], 2
	v_mov_b32_e32 v5, s39
	v_add_co_u32_e32 v4, vcc, s38, v9
	v_addc_co_u32_e32 v5, vcc, v10, v5, vcc
.LBB7_15:                               ;   in Loop: Header=BB7_10 Depth=1
	global_load_dword v4, v[4:5], off
.LBB7_16:                               ;   in Loop: Header=BB7_10 Depth=1
	s_or_b64 exec, exec, s[36:37]
	s_waitcnt vmcnt(0)
	ds_write_b32 v8, v4
	s_and_saveexec_b64 s[36:37], s[30:31]
	s_cbranch_execz .LBB7_9
; %bb.17:                               ;   in Loop: Header=BB7_10 Depth=1
	v_cndmask_b32_e64 v4, v14, v15, s[8:9]
	v_ashrrev_i32_e32 v5, 31, v4
	v_lshlrev_b64 v[4:5], 2, v[4:5]
	v_mov_b32_e32 v16, s19
	v_add_co_u32_e32 v4, vcc, s18, v4
	v_addc_co_u32_e32 v5, vcc, v16, v5, vcc
	global_load_dword v4, v[4:5], off
	s_waitcnt vmcnt(0)
	ds_write_b32 v11, v4
	s_branch .LBB7_9
.LBB7_18:
	s_and_b64 s[0:1], s[2:3], s[0:1]
	s_and_b64 s[0:1], s[26:27], s[0:1]
	s_and_saveexec_b64 s[2:3], s[0:1]
	s_cbranch_execz .LBB7_22
; %bb.19:
	s_load_dwordx2 s[0:1], s[4:5], 0x58
	v_mad_u64_u32 v[2:3], s[2:3], s6, 3, v[2:3]
	s_waitcnt lgkmcnt(0)
	v_mul_lo_u32 v3, v1, s0
	v_mul_lo_u32 v4, v0, s1
	v_mad_u64_u32 v[0:1], s[0:1], v0, s0, 0
	v_add3_u32 v1, v1, v4, v3
	v_cmp_neq_f32_e64 s[0:1], s14, 0
	s_and_b64 vcc, exec, s[0:1]
	v_ashrrev_i32_e32 v3, 31, v2
	v_mul_f32_e32 v4, s20, v6
	v_lshlrev_b64 v[0:1], 2, v[0:1]
	s_cbranch_vccz .LBB7_23
; %bb.20:
	v_mov_b32_e32 v5, s25
	v_add_co_u32_e32 v8, vcc, s24, v0
	v_addc_co_u32_e32 v5, vcc, v5, v1, vcc
	v_lshlrev_b64 v[6:7], 2, v[2:3]
	v_add_co_u32_e32 v6, vcc, v8, v6
	v_addc_co_u32_e32 v7, vcc, v5, v7, vcc
	global_load_dword v5, v[6:7], off
	s_waitcnt vmcnt(0)
	v_fma_f32 v5, s14, v5, v4
	global_store_dword v[6:7], v5, off
	s_cbranch_execnz .LBB7_22
.LBB7_21:
	v_mov_b32_e32 v5, s25
	v_add_co_u32_e32 v6, vcc, s24, v0
	v_addc_co_u32_e32 v5, vcc, v5, v1, vcc
	v_lshlrev_b64 v[0:1], 2, v[2:3]
	v_add_co_u32_e32 v0, vcc, v6, v0
	v_addc_co_u32_e32 v1, vcc, v5, v1, vcc
	global_store_dword v[0:1], v4, off
.LBB7_22:
	s_endpgm
.LBB7_23:
	s_branch .LBB7_21
	.section	.rodata,"a",@progbits
	.p2align	6, 0x0
	.amdhsa_kernel _ZN9rocsparseL29gebsrmm_small_blockdim_kernelILi3ELi2ELi3ELi16EfEEv20rocsparse_direction_20rocsparse_operation_iiNS_24const_host_device_scalarIT3_EEPKiS7_PKS4_iiS9_lS5_PS4_l21rocsparse_index_base_b
		.amdhsa_group_segment_fixed_size 228
		.amdhsa_private_segment_fixed_size 0
		.amdhsa_kernarg_size 104
		.amdhsa_user_sgpr_count 6
		.amdhsa_user_sgpr_private_segment_buffer 1
		.amdhsa_user_sgpr_dispatch_ptr 0
		.amdhsa_user_sgpr_queue_ptr 0
		.amdhsa_user_sgpr_kernarg_segment_ptr 1
		.amdhsa_user_sgpr_dispatch_id 0
		.amdhsa_user_sgpr_flat_scratch_init 0
		.amdhsa_user_sgpr_kernarg_preload_length 0
		.amdhsa_user_sgpr_kernarg_preload_offset 0
		.amdhsa_user_sgpr_private_segment_size 0
		.amdhsa_uses_dynamic_stack 0
		.amdhsa_system_sgpr_private_segment_wavefront_offset 0
		.amdhsa_system_sgpr_workgroup_id_x 1
		.amdhsa_system_sgpr_workgroup_id_y 1
		.amdhsa_system_sgpr_workgroup_id_z 0
		.amdhsa_system_sgpr_workgroup_info 0
		.amdhsa_system_vgpr_workitem_id 1
		.amdhsa_next_free_vgpr 18
		.amdhsa_next_free_sgpr 42
		.amdhsa_accum_offset 20
		.amdhsa_reserve_vcc 1
		.amdhsa_reserve_flat_scratch 0
		.amdhsa_float_round_mode_32 0
		.amdhsa_float_round_mode_16_64 0
		.amdhsa_float_denorm_mode_32 3
		.amdhsa_float_denorm_mode_16_64 3
		.amdhsa_dx10_clamp 1
		.amdhsa_ieee_mode 1
		.amdhsa_fp16_overflow 0
		.amdhsa_tg_split 0
		.amdhsa_exception_fp_ieee_invalid_op 0
		.amdhsa_exception_fp_denorm_src 0
		.amdhsa_exception_fp_ieee_div_zero 0
		.amdhsa_exception_fp_ieee_overflow 0
		.amdhsa_exception_fp_ieee_underflow 0
		.amdhsa_exception_fp_ieee_inexact 0
		.amdhsa_exception_int_div_zero 0
	.end_amdhsa_kernel
	.section	.text._ZN9rocsparseL29gebsrmm_small_blockdim_kernelILi3ELi2ELi3ELi16EfEEv20rocsparse_direction_20rocsparse_operation_iiNS_24const_host_device_scalarIT3_EEPKiS7_PKS4_iiS9_lS5_PS4_l21rocsparse_index_base_b,"axG",@progbits,_ZN9rocsparseL29gebsrmm_small_blockdim_kernelILi3ELi2ELi3ELi16EfEEv20rocsparse_direction_20rocsparse_operation_iiNS_24const_host_device_scalarIT3_EEPKiS7_PKS4_iiS9_lS5_PS4_l21rocsparse_index_base_b,comdat
.Lfunc_end7:
	.size	_ZN9rocsparseL29gebsrmm_small_blockdim_kernelILi3ELi2ELi3ELi16EfEEv20rocsparse_direction_20rocsparse_operation_iiNS_24const_host_device_scalarIT3_EEPKiS7_PKS4_iiS9_lS5_PS4_l21rocsparse_index_base_b, .Lfunc_end7-_ZN9rocsparseL29gebsrmm_small_blockdim_kernelILi3ELi2ELi3ELi16EfEEv20rocsparse_direction_20rocsparse_operation_iiNS_24const_host_device_scalarIT3_EEPKiS7_PKS4_iiS9_lS5_PS4_l21rocsparse_index_base_b
                                        ; -- End function
	.section	.AMDGPU.csdata,"",@progbits
; Kernel info:
; codeLenInByte = 956
; NumSgprs: 46
; NumVgprs: 18
; NumAgprs: 0
; TotalNumVgprs: 18
; ScratchSize: 0
; MemoryBound: 0
; FloatMode: 240
; IeeeMode: 1
; LDSByteSize: 228 bytes/workgroup (compile time only)
; SGPRBlocks: 5
; VGPRBlocks: 2
; NumSGPRsForWavesPerEU: 46
; NumVGPRsForWavesPerEU: 18
; AccumOffset: 20
; Occupancy: 8
; WaveLimiterHint : 0
; COMPUTE_PGM_RSRC2:SCRATCH_EN: 0
; COMPUTE_PGM_RSRC2:USER_SGPR: 6
; COMPUTE_PGM_RSRC2:TRAP_HANDLER: 0
; COMPUTE_PGM_RSRC2:TGID_X_EN: 1
; COMPUTE_PGM_RSRC2:TGID_Y_EN: 1
; COMPUTE_PGM_RSRC2:TGID_Z_EN: 0
; COMPUTE_PGM_RSRC2:TIDIG_COMP_CNT: 1
; COMPUTE_PGM_RSRC3_GFX90A:ACCUM_OFFSET: 4
; COMPUTE_PGM_RSRC3_GFX90A:TG_SPLIT: 0
	.section	.text._ZN9rocsparseL29gebsrmm_small_blockdim_kernelILi3ELi4ELi4ELi16EfEEv20rocsparse_direction_20rocsparse_operation_iiNS_24const_host_device_scalarIT3_EEPKiS7_PKS4_iiS9_lS5_PS4_l21rocsparse_index_base_b,"axG",@progbits,_ZN9rocsparseL29gebsrmm_small_blockdim_kernelILi3ELi4ELi4ELi16EfEEv20rocsparse_direction_20rocsparse_operation_iiNS_24const_host_device_scalarIT3_EEPKiS7_PKS4_iiS9_lS5_PS4_l21rocsparse_index_base_b,comdat
	.globl	_ZN9rocsparseL29gebsrmm_small_blockdim_kernelILi3ELi4ELi4ELi16EfEEv20rocsparse_direction_20rocsparse_operation_iiNS_24const_host_device_scalarIT3_EEPKiS7_PKS4_iiS9_lS5_PS4_l21rocsparse_index_base_b ; -- Begin function _ZN9rocsparseL29gebsrmm_small_blockdim_kernelILi3ELi4ELi4ELi16EfEEv20rocsparse_direction_20rocsparse_operation_iiNS_24const_host_device_scalarIT3_EEPKiS7_PKS4_iiS9_lS5_PS4_l21rocsparse_index_base_b
	.p2align	8
	.type	_ZN9rocsparseL29gebsrmm_small_blockdim_kernelILi3ELi4ELi4ELi16EfEEv20rocsparse_direction_20rocsparse_operation_iiNS_24const_host_device_scalarIT3_EEPKiS7_PKS4_iiS9_lS5_PS4_l21rocsparse_index_base_b,@function
_ZN9rocsparseL29gebsrmm_small_blockdim_kernelILi3ELi4ELi4ELi16EfEEv20rocsparse_direction_20rocsparse_operation_iiNS_24const_host_device_scalarIT3_EEPKiS7_PKS4_iiS9_lS5_PS4_l21rocsparse_index_base_b: ; @_ZN9rocsparseL29gebsrmm_small_blockdim_kernelILi3ELi4ELi4ELi16EfEEv20rocsparse_direction_20rocsparse_operation_iiNS_24const_host_device_scalarIT3_EEPKiS7_PKS4_iiS9_lS5_PS4_l21rocsparse_index_base_b
; %bb.0:
	s_load_dwordx2 s[22:23], s[4:5], 0x60
	s_load_dwordx2 s[20:21], s[4:5], 0x10
	s_load_dwordx4 s[12:15], s[4:5], 0x40
	s_waitcnt lgkmcnt(0)
	s_bitcmp1_b32 s23, 0
	s_cselect_b64 s[2:3], -1, 0
	s_xor_b64 s[0:1], s[2:3], -1
	s_and_b64 vcc, exec, s[2:3]
	s_cbranch_vccnz .LBB8_2
; %bb.1:
	s_load_dword s20, s[20:21], 0x0
.LBB8_2:
	s_andn2_b64 vcc, exec, s[0:1]
	s_cbranch_vccnz .LBB8_4
; %bb.3:
	s_load_dword s14, s[14:15], 0x0
.LBB8_4:
	s_waitcnt lgkmcnt(0)
	v_cmp_eq_f32_e64 s[0:1], s20, 0
	v_cmp_eq_f32_e64 s[2:3], s14, 1.0
	s_and_b64 s[0:1], s[0:1], s[2:3]
	s_mov_b32 s28, 0
	s_and_b64 vcc, exec, s[0:1]
	s_cbranch_vccnz .LBB8_22
; %bb.5:
	s_load_dwordx4 s[8:11], s[4:5], 0x0
	s_mov_b32 s15, 0
	s_waitcnt lgkmcnt(0)
	s_cmp_lt_i32 s6, s10
	s_cselect_b64 s[26:27], -1, 0
	s_cmp_ge_i32 s6, s10
	s_cbranch_scc1 .LBB8_7
; %bb.6:
	s_load_dwordx2 s[2:3], s[4:5], 0x18
	s_mov_b32 s0, s7
	s_ashr_i32 s7, s6, 31
	s_lshl_b64 s[16:17], s[6:7], 2
	s_mov_b32 s7, s0
	s_waitcnt lgkmcnt(0)
	s_add_u32 s0, s2, s16
	s_addc_u32 s1, s3, s17
	s_load_dwordx2 s[0:1], s[0:1], 0x0
	s_waitcnt lgkmcnt(0)
	s_sub_i32 s28, s0, s22
	s_sub_i32 s15, s1, s22
.LBB8_7:
	s_load_dwordx2 s[24:25], s[4:5], 0x50
	v_bfe_u32 v4, v0, 10, 10
	v_and_b32_e32 v2, 0x3ff, v0
	v_lshl_add_u32 v0, s7, 4, v4
	v_ashrrev_i32_e32 v1, 31, v0
	v_cmp_gt_i32_e64 s[0:1], s11, v0
	v_cmp_gt_u32_e64 s[2:3], 3, v2
	s_cmp_ge_i32 s28, s15
	v_mov_b32_e32 v6, 0
	s_cbranch_scc1 .LBB8_18
; %bb.8:
	s_load_dwordx4 s[16:19], s[4:5], 0x20
	s_load_dwordx2 s[36:37], s[4:5], 0x38
	v_cmp_gt_u32_e32 vcc, 4, v2
	s_and_b64 s[10:11], vcc, s[0:1]
	v_cmp_gt_u32_e32 vcc, 4, v4
	v_lshlrev_b64 v[6:7], 2, v[0:1]
	s_and_b64 s[30:31], s[2:3], vcc
	s_waitcnt lgkmcnt(0)
	v_add_co_u32_e32 v3, vcc, s36, v6
	v_mul_lo_u32 v6, v1, s12
	v_mul_lo_u32 v8, v0, s13
	v_mad_u64_u32 v[10:11], s[34:35], v0, s12, 0
	v_mov_b32_e32 v5, s37
	v_add3_u32 v11, v11, v8, v6
	v_addc_co_u32_e32 v7, vcc, v5, v7, vcc
	s_cmpk_lg_i32 s9, 0x6f
	v_lshlrev_b64 v[10:11], 2, v[10:11]
	s_cselect_b64 s[34:35], -1, 0
	v_add_co_u32_e32 v9, vcc, s36, v10
	s_cmp_eq_u32 s8, 0
	v_addc_co_u32_e32 v5, vcc, v5, v11, vcc
	v_lshlrev_b32_e32 v15, 2, v2
	s_cselect_b64 s[8:9], -1, 0
	s_ashr_i32 s29, s28, 31
	v_lshlrev_b32_e32 v6, 2, v4
	v_add_co_u32_e32 v9, vcc, v9, v15
	s_lshl_b64 s[36:37], s[28:29], 2
	v_add_lshl_u32 v8, v6, v2, 2
	v_addc_co_u32_e32 v10, vcc, 0, v5, vcc
	s_add_u32 s16, s16, s36
	s_mul_i32 s7, s28, 12
	v_mul_u32_u24_e32 v5, 3, v4
	v_mov_b32_e32 v6, 0
	v_add_u32_e32 v11, 0x100, v8
	v_add_u32_e32 v12, 0x100, v15
	v_lshlrev_b32_e32 v13, 4, v4
	s_addc_u32 s17, s17, s37
	v_add3_u32 v14, v2, s7, v5
	v_add3_u32 v15, v4, s7, v15
	s_branch .LBB8_10
.LBB8_9:                                ;   in Loop: Header=BB8_10 Depth=1
	s_or_b64 exec, exec, s[36:37]
	s_waitcnt lgkmcnt(0)
	; wave barrier
	s_waitcnt lgkmcnt(0)
	ds_read_b128 v[16:19], v13
	ds_read2_b32 v[4:5], v12 offset1:4
	ds_read2_b32 v[20:21], v12 offset0:8 offset1:12
	s_add_i32 s28, s28, 1
	s_add_u32 s16, s16, 4
	s_addc_u32 s17, s17, 0
	s_waitcnt lgkmcnt(1)
	v_fmac_f32_e32 v6, v4, v16
	v_fmac_f32_e32 v6, v5, v17
	s_waitcnt lgkmcnt(0)
	v_fmac_f32_e32 v6, v20, v18
	v_fmac_f32_e32 v6, v21, v19
	v_add_u32_e32 v14, 12, v14
	s_cmp_ge_i32 s28, s15
	v_add_u32_e32 v15, 12, v15
	s_waitcnt lgkmcnt(0)
	; wave barrier
	s_cbranch_scc1 .LBB8_18
.LBB8_10:                               ; =>This Inner Loop Header: Depth=1
	v_mov_b32_e32 v4, 0
	s_and_saveexec_b64 s[36:37], s[10:11]
	s_cbranch_execz .LBB8_16
; %bb.11:                               ;   in Loop: Header=BB8_10 Depth=1
	s_load_dword s7, s[16:17], 0x0
	s_and_b64 vcc, exec, s[34:35]
	s_waitcnt lgkmcnt(0)
	s_sub_i32 s7, s7, s22
	s_lshl_b32 s38, s7, 2
	s_cbranch_vccz .LBB8_13
; %bb.12:                               ;   in Loop: Header=BB8_10 Depth=1
	v_or_b32_e32 v4, s38, v2
	s_ashr_i32 s7, s38, 31
	v_mul_lo_u32 v16, v4, s13
	s_mul_i32 s7, s7, s12
	v_mad_u64_u32 v[4:5], s[40:41], v4, s12, 0
	v_add3_u32 v5, v5, v16, s7
	v_lshlrev_b64 v[4:5], 2, v[4:5]
	v_add_co_u32_e32 v4, vcc, v3, v4
	v_addc_co_u32_e32 v5, vcc, v7, v5, vcc
	s_cbranch_execz .LBB8_14
	s_branch .LBB8_15
.LBB8_13:                               ;   in Loop: Header=BB8_10 Depth=1
                                        ; implicit-def: $vgpr4_vgpr5
.LBB8_14:                               ;   in Loop: Header=BB8_10 Depth=1
	s_ashr_i32 s39, s38, 31
	s_lshl_b64 s[38:39], s[38:39], 2
	v_mov_b32_e32 v5, s39
	v_add_co_u32_e32 v4, vcc, s38, v9
	v_addc_co_u32_e32 v5, vcc, v10, v5, vcc
.LBB8_15:                               ;   in Loop: Header=BB8_10 Depth=1
	global_load_dword v4, v[4:5], off
.LBB8_16:                               ;   in Loop: Header=BB8_10 Depth=1
	s_or_b64 exec, exec, s[36:37]
	s_waitcnt vmcnt(0)
	ds_write_b32 v8, v4
	s_and_saveexec_b64 s[36:37], s[30:31]
	s_cbranch_execz .LBB8_9
; %bb.17:                               ;   in Loop: Header=BB8_10 Depth=1
	v_cndmask_b32_e64 v4, v14, v15, s[8:9]
	v_ashrrev_i32_e32 v5, 31, v4
	v_lshlrev_b64 v[4:5], 2, v[4:5]
	v_mov_b32_e32 v16, s19
	v_add_co_u32_e32 v4, vcc, s18, v4
	v_addc_co_u32_e32 v5, vcc, v16, v5, vcc
	global_load_dword v4, v[4:5], off
	s_waitcnt vmcnt(0)
	ds_write_b32 v11, v4
	s_branch .LBB8_9
.LBB8_18:
	s_and_b64 s[0:1], s[2:3], s[0:1]
	s_and_b64 s[0:1], s[26:27], s[0:1]
	s_and_saveexec_b64 s[2:3], s[0:1]
	s_cbranch_execz .LBB8_22
; %bb.19:
	s_load_dwordx2 s[0:1], s[4:5], 0x58
	v_mad_u64_u32 v[2:3], s[2:3], s6, 3, v[2:3]
	s_waitcnt lgkmcnt(0)
	v_mul_lo_u32 v3, v1, s0
	v_mul_lo_u32 v4, v0, s1
	v_mad_u64_u32 v[0:1], s[0:1], v0, s0, 0
	v_add3_u32 v1, v1, v4, v3
	v_cmp_neq_f32_e64 s[0:1], s14, 0
	s_and_b64 vcc, exec, s[0:1]
	v_ashrrev_i32_e32 v3, 31, v2
	v_mul_f32_e32 v4, s20, v6
	v_lshlrev_b64 v[0:1], 2, v[0:1]
	s_cbranch_vccz .LBB8_23
; %bb.20:
	v_mov_b32_e32 v5, s25
	v_add_co_u32_e32 v8, vcc, s24, v0
	v_addc_co_u32_e32 v5, vcc, v5, v1, vcc
	v_lshlrev_b64 v[6:7], 2, v[2:3]
	v_add_co_u32_e32 v6, vcc, v8, v6
	v_addc_co_u32_e32 v7, vcc, v5, v7, vcc
	global_load_dword v5, v[6:7], off
	s_waitcnt vmcnt(0)
	v_fma_f32 v5, s14, v5, v4
	global_store_dword v[6:7], v5, off
	s_cbranch_execnz .LBB8_22
.LBB8_21:
	v_mov_b32_e32 v5, s25
	v_add_co_u32_e32 v6, vcc, s24, v0
	v_addc_co_u32_e32 v5, vcc, v5, v1, vcc
	v_lshlrev_b64 v[0:1], 2, v[2:3]
	v_add_co_u32_e32 v0, vcc, v6, v0
	v_addc_co_u32_e32 v1, vcc, v5, v1, vcc
	global_store_dword v[0:1], v4, off
.LBB8_22:
	s_endpgm
.LBB8_23:
	s_branch .LBB8_21
	.section	.rodata,"a",@progbits
	.p2align	6, 0x0
	.amdhsa_kernel _ZN9rocsparseL29gebsrmm_small_blockdim_kernelILi3ELi4ELi4ELi16EfEEv20rocsparse_direction_20rocsparse_operation_iiNS_24const_host_device_scalarIT3_EEPKiS7_PKS4_iiS9_lS5_PS4_l21rocsparse_index_base_b
		.amdhsa_group_segment_fixed_size 320
		.amdhsa_private_segment_fixed_size 0
		.amdhsa_kernarg_size 104
		.amdhsa_user_sgpr_count 6
		.amdhsa_user_sgpr_private_segment_buffer 1
		.amdhsa_user_sgpr_dispatch_ptr 0
		.amdhsa_user_sgpr_queue_ptr 0
		.amdhsa_user_sgpr_kernarg_segment_ptr 1
		.amdhsa_user_sgpr_dispatch_id 0
		.amdhsa_user_sgpr_flat_scratch_init 0
		.amdhsa_user_sgpr_kernarg_preload_length 0
		.amdhsa_user_sgpr_kernarg_preload_offset 0
		.amdhsa_user_sgpr_private_segment_size 0
		.amdhsa_uses_dynamic_stack 0
		.amdhsa_system_sgpr_private_segment_wavefront_offset 0
		.amdhsa_system_sgpr_workgroup_id_x 1
		.amdhsa_system_sgpr_workgroup_id_y 1
		.amdhsa_system_sgpr_workgroup_id_z 0
		.amdhsa_system_sgpr_workgroup_info 0
		.amdhsa_system_vgpr_workitem_id 1
		.amdhsa_next_free_vgpr 22
		.amdhsa_next_free_sgpr 42
		.amdhsa_accum_offset 24
		.amdhsa_reserve_vcc 1
		.amdhsa_reserve_flat_scratch 0
		.amdhsa_float_round_mode_32 0
		.amdhsa_float_round_mode_16_64 0
		.amdhsa_float_denorm_mode_32 3
		.amdhsa_float_denorm_mode_16_64 3
		.amdhsa_dx10_clamp 1
		.amdhsa_ieee_mode 1
		.amdhsa_fp16_overflow 0
		.amdhsa_tg_split 0
		.amdhsa_exception_fp_ieee_invalid_op 0
		.amdhsa_exception_fp_denorm_src 0
		.amdhsa_exception_fp_ieee_div_zero 0
		.amdhsa_exception_fp_ieee_overflow 0
		.amdhsa_exception_fp_ieee_underflow 0
		.amdhsa_exception_fp_ieee_inexact 0
		.amdhsa_exception_int_div_zero 0
	.end_amdhsa_kernel
	.section	.text._ZN9rocsparseL29gebsrmm_small_blockdim_kernelILi3ELi4ELi4ELi16EfEEv20rocsparse_direction_20rocsparse_operation_iiNS_24const_host_device_scalarIT3_EEPKiS7_PKS4_iiS9_lS5_PS4_l21rocsparse_index_base_b,"axG",@progbits,_ZN9rocsparseL29gebsrmm_small_blockdim_kernelILi3ELi4ELi4ELi16EfEEv20rocsparse_direction_20rocsparse_operation_iiNS_24const_host_device_scalarIT3_EEPKiS7_PKS4_iiS9_lS5_PS4_l21rocsparse_index_base_b,comdat
.Lfunc_end8:
	.size	_ZN9rocsparseL29gebsrmm_small_blockdim_kernelILi3ELi4ELi4ELi16EfEEv20rocsparse_direction_20rocsparse_operation_iiNS_24const_host_device_scalarIT3_EEPKiS7_PKS4_iiS9_lS5_PS4_l21rocsparse_index_base_b, .Lfunc_end8-_ZN9rocsparseL29gebsrmm_small_blockdim_kernelILi3ELi4ELi4ELi16EfEEv20rocsparse_direction_20rocsparse_operation_iiNS_24const_host_device_scalarIT3_EEPKiS7_PKS4_iiS9_lS5_PS4_l21rocsparse_index_base_b
                                        ; -- End function
	.section	.AMDGPU.csdata,"",@progbits
; Kernel info:
; codeLenInByte = 976
; NumSgprs: 46
; NumVgprs: 22
; NumAgprs: 0
; TotalNumVgprs: 22
; ScratchSize: 0
; MemoryBound: 0
; FloatMode: 240
; IeeeMode: 1
; LDSByteSize: 320 bytes/workgroup (compile time only)
; SGPRBlocks: 5
; VGPRBlocks: 2
; NumSGPRsForWavesPerEU: 46
; NumVGPRsForWavesPerEU: 22
; AccumOffset: 24
; Occupancy: 8
; WaveLimiterHint : 0
; COMPUTE_PGM_RSRC2:SCRATCH_EN: 0
; COMPUTE_PGM_RSRC2:USER_SGPR: 6
; COMPUTE_PGM_RSRC2:TRAP_HANDLER: 0
; COMPUTE_PGM_RSRC2:TGID_X_EN: 1
; COMPUTE_PGM_RSRC2:TGID_Y_EN: 1
; COMPUTE_PGM_RSRC2:TGID_Z_EN: 0
; COMPUTE_PGM_RSRC2:TIDIG_COMP_CNT: 1
; COMPUTE_PGM_RSRC3_GFX90A:ACCUM_OFFSET: 5
; COMPUTE_PGM_RSRC3_GFX90A:TG_SPLIT: 0
	.section	.text._ZN9rocsparseL29gebsrmm_small_blockdim_kernelILi4ELi1ELi4ELi16EfEEv20rocsparse_direction_20rocsparse_operation_iiNS_24const_host_device_scalarIT3_EEPKiS7_PKS4_iiS9_lS5_PS4_l21rocsparse_index_base_b,"axG",@progbits,_ZN9rocsparseL29gebsrmm_small_blockdim_kernelILi4ELi1ELi4ELi16EfEEv20rocsparse_direction_20rocsparse_operation_iiNS_24const_host_device_scalarIT3_EEPKiS7_PKS4_iiS9_lS5_PS4_l21rocsparse_index_base_b,comdat
	.globl	_ZN9rocsparseL29gebsrmm_small_blockdim_kernelILi4ELi1ELi4ELi16EfEEv20rocsparse_direction_20rocsparse_operation_iiNS_24const_host_device_scalarIT3_EEPKiS7_PKS4_iiS9_lS5_PS4_l21rocsparse_index_base_b ; -- Begin function _ZN9rocsparseL29gebsrmm_small_blockdim_kernelILi4ELi1ELi4ELi16EfEEv20rocsparse_direction_20rocsparse_operation_iiNS_24const_host_device_scalarIT3_EEPKiS7_PKS4_iiS9_lS5_PS4_l21rocsparse_index_base_b
	.p2align	8
	.type	_ZN9rocsparseL29gebsrmm_small_blockdim_kernelILi4ELi1ELi4ELi16EfEEv20rocsparse_direction_20rocsparse_operation_iiNS_24const_host_device_scalarIT3_EEPKiS7_PKS4_iiS9_lS5_PS4_l21rocsparse_index_base_b,@function
_ZN9rocsparseL29gebsrmm_small_blockdim_kernelILi4ELi1ELi4ELi16EfEEv20rocsparse_direction_20rocsparse_operation_iiNS_24const_host_device_scalarIT3_EEPKiS7_PKS4_iiS9_lS5_PS4_l21rocsparse_index_base_b: ; @_ZN9rocsparseL29gebsrmm_small_blockdim_kernelILi4ELi1ELi4ELi16EfEEv20rocsparse_direction_20rocsparse_operation_iiNS_24const_host_device_scalarIT3_EEPKiS7_PKS4_iiS9_lS5_PS4_l21rocsparse_index_base_b
; %bb.0:
	s_load_dwordx2 s[22:23], s[4:5], 0x60
	s_load_dwordx2 s[20:21], s[4:5], 0x10
	s_load_dwordx4 s[8:11], s[4:5], 0x40
	s_waitcnt lgkmcnt(0)
	s_bitcmp1_b32 s23, 0
	s_cselect_b64 s[2:3], -1, 0
	s_xor_b64 s[0:1], s[2:3], -1
	s_and_b64 vcc, exec, s[2:3]
	s_cbranch_vccnz .LBB9_2
; %bb.1:
	s_load_dword s20, s[20:21], 0x0
.LBB9_2:
	s_andn2_b64 vcc, exec, s[0:1]
	s_cbranch_vccnz .LBB9_4
; %bb.3:
	s_load_dword s10, s[10:11], 0x0
.LBB9_4:
	s_waitcnt lgkmcnt(0)
	v_cmp_eq_f32_e64 s[0:1], s20, 0
	v_cmp_eq_f32_e64 s[2:3], s10, 1.0
	s_and_b64 s[0:1], s[0:1], s[2:3]
	s_mov_b32 s28, 0
	s_and_b64 vcc, exec, s[0:1]
	s_cbranch_vccnz .LBB9_22
; %bb.5:
	s_load_dwordx4 s[16:19], s[4:5], 0x4
	s_mov_b32 s11, 0
	s_waitcnt lgkmcnt(0)
	s_cmp_lt_i32 s6, s17
	s_cselect_b64 s[26:27], -1, 0
	s_cmp_ge_i32 s6, s17
	s_cbranch_scc1 .LBB9_7
; %bb.6:
	s_load_dwordx2 s[2:3], s[4:5], 0x18
	s_mov_b32 s0, s7
	s_ashr_i32 s7, s6, 31
	s_lshl_b64 s[12:13], s[6:7], 2
	s_mov_b32 s7, s0
	s_waitcnt lgkmcnt(0)
	s_add_u32 s0, s2, s12
	s_addc_u32 s1, s3, s13
	s_load_dwordx2 s[0:1], s[0:1], 0x0
	s_waitcnt lgkmcnt(0)
	s_sub_i32 s28, s0, s22
	s_sub_i32 s11, s1, s22
.LBB9_7:
	s_load_dwordx2 s[24:25], s[4:5], 0x50
	v_bfe_u32 v2, v0, 10, 10
	v_and_b32_e32 v6, 0x3ff, v0
	v_lshl_add_u32 v0, s7, 4, v2
	v_ashrrev_i32_e32 v1, 31, v0
	v_cmp_gt_i32_e64 s[0:1], s18, v0
	v_cmp_gt_u32_e64 s[2:3], 4, v6
	s_cmp_ge_i32 s28, s11
	v_mov_b32_e32 v7, 0
	s_cbranch_scc1 .LBB9_18
; %bb.8:
	s_load_dwordx4 s[12:15], s[4:5], 0x20
	s_load_dwordx2 s[34:35], s[4:5], 0x38
	v_cmp_eq_u32_e32 vcc, 0, v6
	s_and_b64 s[18:19], vcc, s[0:1]
	v_cmp_eq_u32_e32 vcc, 0, v2
	v_lshlrev_b64 v[4:5], 2, v[0:1]
	s_and_b64 s[30:31], s[2:3], vcc
	s_waitcnt lgkmcnt(0)
	v_mov_b32_e32 v3, s35
	v_add_co_u32_e32 v8, vcc, s34, v4
	v_addc_co_u32_e32 v9, vcc, v3, v5, vcc
	v_mul_lo_u32 v7, v1, s8
	v_mul_lo_u32 v10, v0, s9
	v_mad_u64_u32 v[4:5], s[36:37], v0, s8, 0
	v_add3_u32 v5, v5, v10, v7
	s_cmpk_lg_i32 s16, 0x6f
	s_cselect_b64 s[16:17], -1, 0
	v_lshlrev_b64 v[4:5], 2, v[4:5]
	s_ashr_i32 s29, s28, 31
	v_lshlrev_b32_e32 v7, 2, v2
	v_add_co_u32_e32 v11, vcc, s34, v4
	s_lshl_b64 s[34:35], s[28:29], 2
	v_add_lshl_u32 v10, v7, v6, 2
	v_addc_co_u32_e32 v12, vcc, v3, v5, vcc
	v_mov_b32_e32 v3, 0x100
	s_add_u32 s12, s12, s34
	v_add_u32_e32 v13, 0x100, v10
	v_lshl_add_u32 v14, v6, 2, v3
	v_lshlrev_b32_e32 v15, 4, v2
	s_addc_u32 s13, s13, s35
	v_lshl_add_u32 v2, s28, 2, v6
	v_mov_b32_e32 v7, 0
	s_branch .LBB9_10
.LBB9_9:                                ;   in Loop: Header=BB9_10 Depth=1
	s_or_b64 exec, exec, s[34:35]
	s_waitcnt lgkmcnt(0)
	; wave barrier
	s_waitcnt lgkmcnt(0)
	ds_read_b32 v3, v14
	ds_read_b32 v4, v15
	s_add_i32 s28, s28, 1
	s_add_u32 s12, s12, 4
	s_addc_u32 s13, s13, 0
	s_cmp_ge_i32 s28, s11
	s_waitcnt lgkmcnt(0)
	v_fmac_f32_e32 v7, v3, v4
	v_add_u32_e32 v2, 4, v2
	s_waitcnt lgkmcnt(0)
	; wave barrier
	s_cbranch_scc1 .LBB9_18
.LBB9_10:                               ; =>This Inner Loop Header: Depth=1
	v_mov_b32_e32 v3, 0
	s_and_saveexec_b64 s[34:35], s[18:19]
	s_cbranch_execz .LBB9_16
; %bb.11:                               ;   in Loop: Header=BB9_10 Depth=1
	s_load_dword s7, s[12:13], 0x0
	s_and_b64 vcc, exec, s[16:17]
	s_waitcnt lgkmcnt(0)
	s_sub_i32 s36, s7, s22
	s_ashr_i32 s37, s36, 31
	s_cbranch_vccz .LBB9_13
; %bb.12:                               ;   in Loop: Header=BB9_10 Depth=1
	s_mul_i32 s7, s36, s9
	s_mul_hi_u32 s21, s36, s8
	s_add_i32 s7, s21, s7
	s_mul_i32 s21, s37, s8
	s_add_i32 s39, s7, s21
	s_mul_i32 s38, s36, s8
	s_lshl_b64 s[38:39], s[38:39], 2
	v_mov_b32_e32 v3, s39
	v_add_co_u32_e32 v4, vcc, s38, v8
	v_addc_co_u32_e32 v5, vcc, v9, v3, vcc
	s_cbranch_execz .LBB9_14
	s_branch .LBB9_15
.LBB9_13:                               ;   in Loop: Header=BB9_10 Depth=1
                                        ; implicit-def: $vgpr4_vgpr5
.LBB9_14:                               ;   in Loop: Header=BB9_10 Depth=1
	s_lshl_b64 s[36:37], s[36:37], 2
	v_mov_b32_e32 v3, s37
	v_add_co_u32_e32 v4, vcc, s36, v11
	v_addc_co_u32_e32 v5, vcc, v12, v3, vcc
.LBB9_15:                               ;   in Loop: Header=BB9_10 Depth=1
	global_load_dword v3, v[4:5], off
.LBB9_16:                               ;   in Loop: Header=BB9_10 Depth=1
	s_or_b64 exec, exec, s[34:35]
	s_waitcnt vmcnt(0)
	ds_write_b32 v10, v3
	s_and_saveexec_b64 s[34:35], s[30:31]
	s_cbranch_execz .LBB9_9
; %bb.17:                               ;   in Loop: Header=BB9_10 Depth=1
	v_ashrrev_i32_e32 v3, 31, v2
	v_lshlrev_b64 v[4:5], 2, v[2:3]
	v_mov_b32_e32 v3, s15
	v_add_co_u32_e32 v4, vcc, s14, v4
	v_addc_co_u32_e32 v5, vcc, v3, v5, vcc
	global_load_dword v3, v[4:5], off
	s_waitcnt vmcnt(0)
	ds_write_b32 v13, v3
	s_branch .LBB9_9
.LBB9_18:
	s_and_b64 s[0:1], s[2:3], s[0:1]
	s_and_b64 s[0:1], s[26:27], s[0:1]
	s_and_saveexec_b64 s[2:3], s[0:1]
	s_cbranch_execz .LBB9_22
; %bb.19:
	s_load_dwordx2 s[0:1], s[4:5], 0x58
	v_lshl_add_u32 v2, s6, 2, v6
	s_waitcnt lgkmcnt(0)
	v_mul_lo_u32 v3, v1, s0
	v_mul_lo_u32 v4, v0, s1
	v_mad_u64_u32 v[0:1], s[0:1], v0, s0, 0
	v_add3_u32 v1, v1, v4, v3
	v_cmp_neq_f32_e64 s[0:1], s10, 0
	s_and_b64 vcc, exec, s[0:1]
	v_ashrrev_i32_e32 v3, 31, v2
	v_mul_f32_e32 v4, s20, v7
	v_lshlrev_b64 v[0:1], 2, v[0:1]
	s_cbranch_vccz .LBB9_23
; %bb.20:
	v_mov_b32_e32 v5, s25
	v_add_co_u32_e32 v8, vcc, s24, v0
	v_addc_co_u32_e32 v5, vcc, v5, v1, vcc
	v_lshlrev_b64 v[6:7], 2, v[2:3]
	v_add_co_u32_e32 v6, vcc, v8, v6
	v_addc_co_u32_e32 v7, vcc, v5, v7, vcc
	global_load_dword v5, v[6:7], off
	s_waitcnt vmcnt(0)
	v_fma_f32 v5, s10, v5, v4
	global_store_dword v[6:7], v5, off
	s_cbranch_execnz .LBB9_22
.LBB9_21:
	v_mov_b32_e32 v5, s25
	v_add_co_u32_e32 v6, vcc, s24, v0
	v_addc_co_u32_e32 v5, vcc, v5, v1, vcc
	v_lshlrev_b64 v[0:1], 2, v[2:3]
	v_add_co_u32_e32 v0, vcc, v6, v0
	v_addc_co_u32_e32 v1, vcc, v5, v1, vcc
	global_store_dword v[0:1], v4, off
.LBB9_22:
	s_endpgm
.LBB9_23:
	s_branch .LBB9_21
	.section	.rodata,"a",@progbits
	.p2align	6, 0x0
	.amdhsa_kernel _ZN9rocsparseL29gebsrmm_small_blockdim_kernelILi4ELi1ELi4ELi16EfEEv20rocsparse_direction_20rocsparse_operation_iiNS_24const_host_device_scalarIT3_EEPKiS7_PKS4_iiS9_lS5_PS4_l21rocsparse_index_base_b
		.amdhsa_group_segment_fixed_size 320
		.amdhsa_private_segment_fixed_size 0
		.amdhsa_kernarg_size 104
		.amdhsa_user_sgpr_count 6
		.amdhsa_user_sgpr_private_segment_buffer 1
		.amdhsa_user_sgpr_dispatch_ptr 0
		.amdhsa_user_sgpr_queue_ptr 0
		.amdhsa_user_sgpr_kernarg_segment_ptr 1
		.amdhsa_user_sgpr_dispatch_id 0
		.amdhsa_user_sgpr_flat_scratch_init 0
		.amdhsa_user_sgpr_kernarg_preload_length 0
		.amdhsa_user_sgpr_kernarg_preload_offset 0
		.amdhsa_user_sgpr_private_segment_size 0
		.amdhsa_uses_dynamic_stack 0
		.amdhsa_system_sgpr_private_segment_wavefront_offset 0
		.amdhsa_system_sgpr_workgroup_id_x 1
		.amdhsa_system_sgpr_workgroup_id_y 1
		.amdhsa_system_sgpr_workgroup_id_z 0
		.amdhsa_system_sgpr_workgroup_info 0
		.amdhsa_system_vgpr_workitem_id 1
		.amdhsa_next_free_vgpr 16
		.amdhsa_next_free_sgpr 40
		.amdhsa_accum_offset 16
		.amdhsa_reserve_vcc 1
		.amdhsa_reserve_flat_scratch 0
		.amdhsa_float_round_mode_32 0
		.amdhsa_float_round_mode_16_64 0
		.amdhsa_float_denorm_mode_32 3
		.amdhsa_float_denorm_mode_16_64 3
		.amdhsa_dx10_clamp 1
		.amdhsa_ieee_mode 1
		.amdhsa_fp16_overflow 0
		.amdhsa_tg_split 0
		.amdhsa_exception_fp_ieee_invalid_op 0
		.amdhsa_exception_fp_denorm_src 0
		.amdhsa_exception_fp_ieee_div_zero 0
		.amdhsa_exception_fp_ieee_overflow 0
		.amdhsa_exception_fp_ieee_underflow 0
		.amdhsa_exception_fp_ieee_inexact 0
		.amdhsa_exception_int_div_zero 0
	.end_amdhsa_kernel
	.section	.text._ZN9rocsparseL29gebsrmm_small_blockdim_kernelILi4ELi1ELi4ELi16EfEEv20rocsparse_direction_20rocsparse_operation_iiNS_24const_host_device_scalarIT3_EEPKiS7_PKS4_iiS9_lS5_PS4_l21rocsparse_index_base_b,"axG",@progbits,_ZN9rocsparseL29gebsrmm_small_blockdim_kernelILi4ELi1ELi4ELi16EfEEv20rocsparse_direction_20rocsparse_operation_iiNS_24const_host_device_scalarIT3_EEPKiS7_PKS4_iiS9_lS5_PS4_l21rocsparse_index_base_b,comdat
.Lfunc_end9:
	.size	_ZN9rocsparseL29gebsrmm_small_blockdim_kernelILi4ELi1ELi4ELi16EfEEv20rocsparse_direction_20rocsparse_operation_iiNS_24const_host_device_scalarIT3_EEPKiS7_PKS4_iiS9_lS5_PS4_l21rocsparse_index_base_b, .Lfunc_end9-_ZN9rocsparseL29gebsrmm_small_blockdim_kernelILi4ELi1ELi4ELi16EfEEv20rocsparse_direction_20rocsparse_operation_iiNS_24const_host_device_scalarIT3_EEPKiS7_PKS4_iiS9_lS5_PS4_l21rocsparse_index_base_b
                                        ; -- End function
	.section	.AMDGPU.csdata,"",@progbits
; Kernel info:
; codeLenInByte = 896
; NumSgprs: 44
; NumVgprs: 16
; NumAgprs: 0
; TotalNumVgprs: 16
; ScratchSize: 0
; MemoryBound: 0
; FloatMode: 240
; IeeeMode: 1
; LDSByteSize: 320 bytes/workgroup (compile time only)
; SGPRBlocks: 5
; VGPRBlocks: 1
; NumSGPRsForWavesPerEU: 44
; NumVGPRsForWavesPerEU: 16
; AccumOffset: 16
; Occupancy: 8
; WaveLimiterHint : 0
; COMPUTE_PGM_RSRC2:SCRATCH_EN: 0
; COMPUTE_PGM_RSRC2:USER_SGPR: 6
; COMPUTE_PGM_RSRC2:TRAP_HANDLER: 0
; COMPUTE_PGM_RSRC2:TGID_X_EN: 1
; COMPUTE_PGM_RSRC2:TGID_Y_EN: 1
; COMPUTE_PGM_RSRC2:TGID_Z_EN: 0
; COMPUTE_PGM_RSRC2:TIDIG_COMP_CNT: 1
; COMPUTE_PGM_RSRC3_GFX90A:ACCUM_OFFSET: 3
; COMPUTE_PGM_RSRC3_GFX90A:TG_SPLIT: 0
	.section	.text._ZN9rocsparseL29gebsrmm_small_blockdim_kernelILi4ELi2ELi4ELi16EfEEv20rocsparse_direction_20rocsparse_operation_iiNS_24const_host_device_scalarIT3_EEPKiS7_PKS4_iiS9_lS5_PS4_l21rocsparse_index_base_b,"axG",@progbits,_ZN9rocsparseL29gebsrmm_small_blockdim_kernelILi4ELi2ELi4ELi16EfEEv20rocsparse_direction_20rocsparse_operation_iiNS_24const_host_device_scalarIT3_EEPKiS7_PKS4_iiS9_lS5_PS4_l21rocsparse_index_base_b,comdat
	.globl	_ZN9rocsparseL29gebsrmm_small_blockdim_kernelILi4ELi2ELi4ELi16EfEEv20rocsparse_direction_20rocsparse_operation_iiNS_24const_host_device_scalarIT3_EEPKiS7_PKS4_iiS9_lS5_PS4_l21rocsparse_index_base_b ; -- Begin function _ZN9rocsparseL29gebsrmm_small_blockdim_kernelILi4ELi2ELi4ELi16EfEEv20rocsparse_direction_20rocsparse_operation_iiNS_24const_host_device_scalarIT3_EEPKiS7_PKS4_iiS9_lS5_PS4_l21rocsparse_index_base_b
	.p2align	8
	.type	_ZN9rocsparseL29gebsrmm_small_blockdim_kernelILi4ELi2ELi4ELi16EfEEv20rocsparse_direction_20rocsparse_operation_iiNS_24const_host_device_scalarIT3_EEPKiS7_PKS4_iiS9_lS5_PS4_l21rocsparse_index_base_b,@function
_ZN9rocsparseL29gebsrmm_small_blockdim_kernelILi4ELi2ELi4ELi16EfEEv20rocsparse_direction_20rocsparse_operation_iiNS_24const_host_device_scalarIT3_EEPKiS7_PKS4_iiS9_lS5_PS4_l21rocsparse_index_base_b: ; @_ZN9rocsparseL29gebsrmm_small_blockdim_kernelILi4ELi2ELi4ELi16EfEEv20rocsparse_direction_20rocsparse_operation_iiNS_24const_host_device_scalarIT3_EEPKiS7_PKS4_iiS9_lS5_PS4_l21rocsparse_index_base_b
; %bb.0:
	s_load_dwordx2 s[22:23], s[4:5], 0x60
	s_load_dwordx2 s[20:21], s[4:5], 0x10
	s_load_dwordx4 s[8:11], s[4:5], 0x40
	s_waitcnt lgkmcnt(0)
	s_bitcmp1_b32 s23, 0
	s_cselect_b64 s[2:3], -1, 0
	s_xor_b64 s[0:1], s[2:3], -1
	s_and_b64 vcc, exec, s[2:3]
	s_cbranch_vccnz .LBB10_2
; %bb.1:
	s_load_dword s20, s[20:21], 0x0
.LBB10_2:
	s_andn2_b64 vcc, exec, s[0:1]
	s_cbranch_vccnz .LBB10_4
; %bb.3:
	s_load_dword s10, s[10:11], 0x0
.LBB10_4:
	s_waitcnt lgkmcnt(0)
	v_cmp_eq_f32_e64 s[0:1], s20, 0
	v_cmp_eq_f32_e64 s[2:3], s10, 1.0
	s_and_b64 s[0:1], s[0:1], s[2:3]
	s_mov_b32 s28, 0
	s_and_b64 vcc, exec, s[0:1]
	s_cbranch_vccnz .LBB10_22
; %bb.5:
	s_load_dwordx4 s[16:19], s[4:5], 0x0
	s_mov_b32 s11, 0
	s_waitcnt lgkmcnt(0)
	s_cmp_lt_i32 s6, s18
	s_cselect_b64 s[26:27], -1, 0
	s_cmp_ge_i32 s6, s18
	s_cbranch_scc1 .LBB10_7
; %bb.6:
	s_load_dwordx2 s[2:3], s[4:5], 0x18
	s_mov_b32 s0, s7
	s_ashr_i32 s7, s6, 31
	s_lshl_b64 s[12:13], s[6:7], 2
	s_mov_b32 s7, s0
	s_waitcnt lgkmcnt(0)
	s_add_u32 s0, s2, s12
	s_addc_u32 s1, s3, s13
	s_load_dwordx2 s[0:1], s[0:1], 0x0
	s_waitcnt lgkmcnt(0)
	s_sub_i32 s28, s0, s22
	s_sub_i32 s11, s1, s22
.LBB10_7:
	s_load_dwordx2 s[24:25], s[4:5], 0x50
	v_bfe_u32 v2, v0, 10, 10
	v_and_b32_e32 v6, 0x3ff, v0
	v_lshl_add_u32 v0, s7, 4, v2
	v_ashrrev_i32_e32 v1, 31, v0
	v_cmp_gt_i32_e64 s[0:1], s19, v0
	v_cmp_gt_u32_e64 s[2:3], 4, v6
	s_cmp_ge_i32 s28, s11
	v_mov_b32_e32 v7, 0
	s_cbranch_scc1 .LBB10_18
; %bb.8:
	s_load_dwordx4 s[12:15], s[4:5], 0x20
	s_load_dwordx2 s[36:37], s[4:5], 0x38
	v_cmp_gt_u32_e32 vcc, 2, v6
	s_and_b64 s[18:19], vcc, s[0:1]
	v_cmp_gt_u32_e32 vcc, 2, v2
	v_lshlrev_b64 v[4:5], 2, v[0:1]
	s_and_b64 s[30:31], s[2:3], vcc
	s_waitcnt lgkmcnt(0)
	v_mov_b32_e32 v3, s37
	v_add_co_u32_e32 v8, vcc, s36, v4
	v_addc_co_u32_e32 v9, vcc, v3, v5, vcc
	v_mul_lo_u32 v7, v1, s8
	v_mul_lo_u32 v10, v0, s9
	v_mad_u64_u32 v[4:5], s[34:35], v0, s8, 0
	v_add3_u32 v5, v5, v10, v7
	v_lshlrev_b64 v[4:5], 2, v[4:5]
	v_add_co_u32_e32 v4, vcc, s36, v4
	v_addc_co_u32_e32 v3, vcc, v3, v5, vcc
	v_lshlrev_b32_e32 v5, 2, v6
	s_cmpk_lg_i32 s17, 0x6f
	v_add_co_u32_e32 v11, vcc, v4, v5
	s_cselect_b64 s[34:35], -1, 0
	v_addc_co_u32_e32 v12, vcc, 0, v3, vcc
	s_cmp_eq_u32 s16, 0
	s_cselect_b64 vcc, -1, 0
	s_ashr_i32 s29, s28, 31
	s_lshl_b64 s[16:17], s[28:29], 2
	v_lshlrev_b32_e32 v16, 2, v2
	v_lshlrev_b32_e32 v3, 1, v6
	s_add_u32 s12, s12, s16
	v_add_lshl_u32 v10, v16, v6, 2
	v_lshlrev_b32_e32 v15, 4, v2
	v_cndmask_b32_e32 v3, v16, v3, vcc
	v_cndmask_b32_e32 v2, v6, v2, vcc
	s_addc_u32 s13, s13, s17
	s_lshl_b32 s7, s28, 3
	v_mov_b32_e32 v7, 0
	v_add_u32_e32 v13, 0x100, v10
	v_add_u32_e32 v14, 0x100, v5
	v_add3_u32 v2, v2, v3, s7
	s_branch .LBB10_10
.LBB10_9:                               ;   in Loop: Header=BB10_10 Depth=1
	s_or_b64 exec, exec, s[16:17]
	s_waitcnt lgkmcnt(0)
	; wave barrier
	s_waitcnt lgkmcnt(0)
	ds_read_b64 v[4:5], v15
	ds_read2_b32 v[16:17], v14 offset1:4
	s_add_i32 s28, s28, 1
	s_add_u32 s12, s12, 4
	s_addc_u32 s13, s13, 0
	s_cmp_ge_i32 s28, s11
	s_waitcnt lgkmcnt(0)
	v_fmac_f32_e32 v7, v16, v4
	v_fmac_f32_e32 v7, v17, v5
	v_add_u32_e32 v2, 8, v2
	s_waitcnt lgkmcnt(0)
	; wave barrier
	s_cbranch_scc1 .LBB10_18
.LBB10_10:                              ; =>This Inner Loop Header: Depth=1
	v_mov_b32_e32 v3, 0
	s_and_saveexec_b64 s[16:17], s[18:19]
	s_cbranch_execz .LBB10_16
; %bb.11:                               ;   in Loop: Header=BB10_10 Depth=1
	s_load_dword s7, s[12:13], 0x0
	s_and_b64 vcc, exec, s[34:35]
	s_waitcnt lgkmcnt(0)
	s_sub_i32 s7, s7, s22
	s_lshl_b32 s36, s7, 1
	s_cbranch_vccz .LBB10_13
; %bb.12:                               ;   in Loop: Header=BB10_10 Depth=1
	v_or_b32_e32 v3, s36, v6
	s_ashr_i32 s7, s36, 31
	v_mul_lo_u32 v16, v3, s9
	s_mul_i32 s7, s7, s8
	v_mad_u64_u32 v[4:5], s[38:39], v3, s8, 0
	v_add3_u32 v5, v5, v16, s7
	v_lshlrev_b64 v[4:5], 2, v[4:5]
	v_add_co_u32_e32 v4, vcc, v8, v4
	v_addc_co_u32_e32 v5, vcc, v9, v5, vcc
	s_cbranch_execz .LBB10_14
	s_branch .LBB10_15
.LBB10_13:                              ;   in Loop: Header=BB10_10 Depth=1
                                        ; implicit-def: $vgpr4_vgpr5
.LBB10_14:                              ;   in Loop: Header=BB10_10 Depth=1
	s_ashr_i32 s37, s36, 31
	s_lshl_b64 s[36:37], s[36:37], 2
	v_mov_b32_e32 v3, s37
	v_add_co_u32_e32 v4, vcc, s36, v11
	v_addc_co_u32_e32 v5, vcc, v12, v3, vcc
.LBB10_15:                              ;   in Loop: Header=BB10_10 Depth=1
	global_load_dword v3, v[4:5], off
.LBB10_16:                              ;   in Loop: Header=BB10_10 Depth=1
	s_or_b64 exec, exec, s[16:17]
	s_waitcnt vmcnt(0)
	ds_write_b32 v10, v3
	s_and_saveexec_b64 s[16:17], s[30:31]
	s_cbranch_execz .LBB10_9
; %bb.17:                               ;   in Loop: Header=BB10_10 Depth=1
	v_ashrrev_i32_e32 v3, 31, v2
	v_lshlrev_b64 v[4:5], 2, v[2:3]
	v_mov_b32_e32 v3, s15
	v_add_co_u32_e32 v4, vcc, s14, v4
	v_addc_co_u32_e32 v5, vcc, v3, v5, vcc
	global_load_dword v3, v[4:5], off
	s_waitcnt vmcnt(0)
	ds_write_b32 v13, v3
	s_branch .LBB10_9
.LBB10_18:
	s_and_b64 s[0:1], s[2:3], s[0:1]
	s_and_b64 s[0:1], s[26:27], s[0:1]
	s_and_saveexec_b64 s[2:3], s[0:1]
	s_cbranch_execz .LBB10_22
; %bb.19:
	s_load_dwordx2 s[0:1], s[4:5], 0x58
	v_lshl_add_u32 v2, s6, 2, v6
	s_waitcnt lgkmcnt(0)
	v_mul_lo_u32 v3, v1, s0
	v_mul_lo_u32 v4, v0, s1
	v_mad_u64_u32 v[0:1], s[0:1], v0, s0, 0
	v_add3_u32 v1, v1, v4, v3
	v_cmp_neq_f32_e64 s[0:1], s10, 0
	s_and_b64 vcc, exec, s[0:1]
	v_ashrrev_i32_e32 v3, 31, v2
	v_mul_f32_e32 v4, s20, v7
	v_lshlrev_b64 v[0:1], 2, v[0:1]
	s_cbranch_vccz .LBB10_23
; %bb.20:
	v_mov_b32_e32 v5, s25
	v_add_co_u32_e32 v8, vcc, s24, v0
	v_addc_co_u32_e32 v5, vcc, v5, v1, vcc
	v_lshlrev_b64 v[6:7], 2, v[2:3]
	v_add_co_u32_e32 v6, vcc, v8, v6
	v_addc_co_u32_e32 v7, vcc, v5, v7, vcc
	global_load_dword v5, v[6:7], off
	s_waitcnt vmcnt(0)
	v_fma_f32 v5, s10, v5, v4
	global_store_dword v[6:7], v5, off
	s_cbranch_execnz .LBB10_22
.LBB10_21:
	v_mov_b32_e32 v5, s25
	v_add_co_u32_e32 v6, vcc, s24, v0
	v_addc_co_u32_e32 v5, vcc, v5, v1, vcc
	v_lshlrev_b64 v[0:1], 2, v[2:3]
	v_add_co_u32_e32 v0, vcc, v6, v0
	v_addc_co_u32_e32 v1, vcc, v5, v1, vcc
	global_store_dword v[0:1], v4, off
.LBB10_22:
	s_endpgm
.LBB10_23:
	s_branch .LBB10_21
	.section	.rodata,"a",@progbits
	.p2align	6, 0x0
	.amdhsa_kernel _ZN9rocsparseL29gebsrmm_small_blockdim_kernelILi4ELi2ELi4ELi16EfEEv20rocsparse_direction_20rocsparse_operation_iiNS_24const_host_device_scalarIT3_EEPKiS7_PKS4_iiS9_lS5_PS4_l21rocsparse_index_base_b
		.amdhsa_group_segment_fixed_size 320
		.amdhsa_private_segment_fixed_size 0
		.amdhsa_kernarg_size 104
		.amdhsa_user_sgpr_count 6
		.amdhsa_user_sgpr_private_segment_buffer 1
		.amdhsa_user_sgpr_dispatch_ptr 0
		.amdhsa_user_sgpr_queue_ptr 0
		.amdhsa_user_sgpr_kernarg_segment_ptr 1
		.amdhsa_user_sgpr_dispatch_id 0
		.amdhsa_user_sgpr_flat_scratch_init 0
		.amdhsa_user_sgpr_kernarg_preload_length 0
		.amdhsa_user_sgpr_kernarg_preload_offset 0
		.amdhsa_user_sgpr_private_segment_size 0
		.amdhsa_uses_dynamic_stack 0
		.amdhsa_system_sgpr_private_segment_wavefront_offset 0
		.amdhsa_system_sgpr_workgroup_id_x 1
		.amdhsa_system_sgpr_workgroup_id_y 1
		.amdhsa_system_sgpr_workgroup_id_z 0
		.amdhsa_system_sgpr_workgroup_info 0
		.amdhsa_system_vgpr_workitem_id 1
		.amdhsa_next_free_vgpr 18
		.amdhsa_next_free_sgpr 40
		.amdhsa_accum_offset 20
		.amdhsa_reserve_vcc 1
		.amdhsa_reserve_flat_scratch 0
		.amdhsa_float_round_mode_32 0
		.amdhsa_float_round_mode_16_64 0
		.amdhsa_float_denorm_mode_32 3
		.amdhsa_float_denorm_mode_16_64 3
		.amdhsa_dx10_clamp 1
		.amdhsa_ieee_mode 1
		.amdhsa_fp16_overflow 0
		.amdhsa_tg_split 0
		.amdhsa_exception_fp_ieee_invalid_op 0
		.amdhsa_exception_fp_denorm_src 0
		.amdhsa_exception_fp_ieee_div_zero 0
		.amdhsa_exception_fp_ieee_overflow 0
		.amdhsa_exception_fp_ieee_underflow 0
		.amdhsa_exception_fp_ieee_inexact 0
		.amdhsa_exception_int_div_zero 0
	.end_amdhsa_kernel
	.section	.text._ZN9rocsparseL29gebsrmm_small_blockdim_kernelILi4ELi2ELi4ELi16EfEEv20rocsparse_direction_20rocsparse_operation_iiNS_24const_host_device_scalarIT3_EEPKiS7_PKS4_iiS9_lS5_PS4_l21rocsparse_index_base_b,"axG",@progbits,_ZN9rocsparseL29gebsrmm_small_blockdim_kernelILi4ELi2ELi4ELi16EfEEv20rocsparse_direction_20rocsparse_operation_iiNS_24const_host_device_scalarIT3_EEPKiS7_PKS4_iiS9_lS5_PS4_l21rocsparse_index_base_b,comdat
.Lfunc_end10:
	.size	_ZN9rocsparseL29gebsrmm_small_blockdim_kernelILi4ELi2ELi4ELi16EfEEv20rocsparse_direction_20rocsparse_operation_iiNS_24const_host_device_scalarIT3_EEPKiS7_PKS4_iiS9_lS5_PS4_l21rocsparse_index_base_b, .Lfunc_end10-_ZN9rocsparseL29gebsrmm_small_blockdim_kernelILi4ELi2ELi4ELi16EfEEv20rocsparse_direction_20rocsparse_operation_iiNS_24const_host_device_scalarIT3_EEPKiS7_PKS4_iiS9_lS5_PS4_l21rocsparse_index_base_b
                                        ; -- End function
	.section	.AMDGPU.csdata,"",@progbits
; Kernel info:
; codeLenInByte = 944
; NumSgprs: 44
; NumVgprs: 18
; NumAgprs: 0
; TotalNumVgprs: 18
; ScratchSize: 0
; MemoryBound: 0
; FloatMode: 240
; IeeeMode: 1
; LDSByteSize: 320 bytes/workgroup (compile time only)
; SGPRBlocks: 5
; VGPRBlocks: 2
; NumSGPRsForWavesPerEU: 44
; NumVGPRsForWavesPerEU: 18
; AccumOffset: 20
; Occupancy: 8
; WaveLimiterHint : 0
; COMPUTE_PGM_RSRC2:SCRATCH_EN: 0
; COMPUTE_PGM_RSRC2:USER_SGPR: 6
; COMPUTE_PGM_RSRC2:TRAP_HANDLER: 0
; COMPUTE_PGM_RSRC2:TGID_X_EN: 1
; COMPUTE_PGM_RSRC2:TGID_Y_EN: 1
; COMPUTE_PGM_RSRC2:TGID_Z_EN: 0
; COMPUTE_PGM_RSRC2:TIDIG_COMP_CNT: 1
; COMPUTE_PGM_RSRC3_GFX90A:ACCUM_OFFSET: 4
; COMPUTE_PGM_RSRC3_GFX90A:TG_SPLIT: 0
	.section	.text._ZN9rocsparseL29gebsrmm_small_blockdim_kernelILi4ELi3ELi4ELi16EfEEv20rocsparse_direction_20rocsparse_operation_iiNS_24const_host_device_scalarIT3_EEPKiS7_PKS4_iiS9_lS5_PS4_l21rocsparse_index_base_b,"axG",@progbits,_ZN9rocsparseL29gebsrmm_small_blockdim_kernelILi4ELi3ELi4ELi16EfEEv20rocsparse_direction_20rocsparse_operation_iiNS_24const_host_device_scalarIT3_EEPKiS7_PKS4_iiS9_lS5_PS4_l21rocsparse_index_base_b,comdat
	.globl	_ZN9rocsparseL29gebsrmm_small_blockdim_kernelILi4ELi3ELi4ELi16EfEEv20rocsparse_direction_20rocsparse_operation_iiNS_24const_host_device_scalarIT3_EEPKiS7_PKS4_iiS9_lS5_PS4_l21rocsparse_index_base_b ; -- Begin function _ZN9rocsparseL29gebsrmm_small_blockdim_kernelILi4ELi3ELi4ELi16EfEEv20rocsparse_direction_20rocsparse_operation_iiNS_24const_host_device_scalarIT3_EEPKiS7_PKS4_iiS9_lS5_PS4_l21rocsparse_index_base_b
	.p2align	8
	.type	_ZN9rocsparseL29gebsrmm_small_blockdim_kernelILi4ELi3ELi4ELi16EfEEv20rocsparse_direction_20rocsparse_operation_iiNS_24const_host_device_scalarIT3_EEPKiS7_PKS4_iiS9_lS5_PS4_l21rocsparse_index_base_b,@function
_ZN9rocsparseL29gebsrmm_small_blockdim_kernelILi4ELi3ELi4ELi16EfEEv20rocsparse_direction_20rocsparse_operation_iiNS_24const_host_device_scalarIT3_EEPKiS7_PKS4_iiS9_lS5_PS4_l21rocsparse_index_base_b: ; @_ZN9rocsparseL29gebsrmm_small_blockdim_kernelILi4ELi3ELi4ELi16EfEEv20rocsparse_direction_20rocsparse_operation_iiNS_24const_host_device_scalarIT3_EEPKiS7_PKS4_iiS9_lS5_PS4_l21rocsparse_index_base_b
; %bb.0:
	s_load_dwordx2 s[22:23], s[4:5], 0x60
	s_load_dwordx2 s[20:21], s[4:5], 0x10
	s_load_dwordx4 s[12:15], s[4:5], 0x40
	s_waitcnt lgkmcnt(0)
	s_bitcmp1_b32 s23, 0
	s_cselect_b64 s[2:3], -1, 0
	s_xor_b64 s[0:1], s[2:3], -1
	s_and_b64 vcc, exec, s[2:3]
	s_cbranch_vccnz .LBB11_2
; %bb.1:
	s_load_dword s20, s[20:21], 0x0
.LBB11_2:
	s_andn2_b64 vcc, exec, s[0:1]
	s_cbranch_vccnz .LBB11_4
; %bb.3:
	s_load_dword s14, s[14:15], 0x0
.LBB11_4:
	s_waitcnt lgkmcnt(0)
	v_cmp_eq_f32_e64 s[0:1], s20, 0
	v_cmp_eq_f32_e64 s[2:3], s14, 1.0
	s_and_b64 s[0:1], s[0:1], s[2:3]
	s_mov_b32 s28, 0
	s_and_b64 vcc, exec, s[0:1]
	s_cbranch_vccnz .LBB11_22
; %bb.5:
	s_load_dwordx4 s[8:11], s[4:5], 0x0
	s_mov_b32 s15, 0
	s_waitcnt lgkmcnt(0)
	s_cmp_lt_i32 s6, s10
	s_cselect_b64 s[26:27], -1, 0
	s_cmp_ge_i32 s6, s10
	s_cbranch_scc1 .LBB11_7
; %bb.6:
	s_load_dwordx2 s[2:3], s[4:5], 0x18
	s_mov_b32 s0, s7
	s_ashr_i32 s7, s6, 31
	s_lshl_b64 s[16:17], s[6:7], 2
	s_mov_b32 s7, s0
	s_waitcnt lgkmcnt(0)
	s_add_u32 s0, s2, s16
	s_addc_u32 s1, s3, s17
	s_load_dwordx2 s[0:1], s[0:1], 0x0
	s_waitcnt lgkmcnt(0)
	s_sub_i32 s28, s0, s22
	s_sub_i32 s15, s1, s22
.LBB11_7:
	s_load_dwordx2 s[24:25], s[4:5], 0x50
	v_bfe_u32 v2, v0, 10, 10
	v_and_b32_e32 v4, 0x3ff, v0
	v_lshl_add_u32 v0, s7, 4, v2
	v_ashrrev_i32_e32 v1, 31, v0
	v_cmp_gt_i32_e64 s[0:1], s11, v0
	v_cmp_gt_u32_e64 s[2:3], 4, v4
	s_cmp_ge_i32 s28, s15
	v_mov_b32_e32 v5, 0
	s_cbranch_scc1 .LBB11_18
; %bb.8:
	s_load_dwordx4 s[16:19], s[4:5], 0x20
	s_load_dwordx2 s[36:37], s[4:5], 0x38
	v_cmp_gt_u32_e32 vcc, 3, v4
	s_and_b64 s[10:11], vcc, s[0:1]
	v_cmp_gt_u32_e32 vcc, 3, v2
	s_and_b64 s[30:31], s[2:3], vcc
	v_lshlrev_b64 v[6:7], 2, v[0:1]
	v_mul_lo_u32 v8, v1, s12
	v_mul_lo_u32 v9, v0, s13
	v_mad_u64_u32 v[10:11], s[34:35], v0, s12, 0
	s_waitcnt lgkmcnt(0)
	v_mov_b32_e32 v5, s37
	v_add_co_u32_e32 v6, vcc, s36, v6
	v_add3_u32 v11, v11, v9, v8
	s_cmpk_lg_i32 s9, 0x6f
	v_addc_co_u32_e32 v7, vcc, v5, v7, vcc
	s_cselect_b64 s[34:35], -1, 0
	v_lshlrev_b64 v[10:11], 2, v[10:11]
	s_cmp_eq_u32 s8, 0
	v_add_co_u32_e32 v9, vcc, s36, v10
	s_cselect_b64 s[8:9], -1, 0
	s_ashr_i32 s29, s28, 31
	v_lshlrev_b32_e32 v3, 2, v2
	v_addc_co_u32_e32 v10, vcc, v5, v11, vcc
	v_lshlrev_b32_e32 v12, 2, v4
	s_lshl_b64 s[36:37], s[28:29], 2
	v_add_lshl_u32 v8, v3, v4, 2
	v_add_co_u32_e32 v9, vcc, v9, v12
	v_mul_u32_u24_e32 v15, 3, v4
	s_add_u32 s16, s16, s36
	s_mul_i32 s7, s28, 12
	v_mov_b32_e32 v5, 0
	v_addc_co_u32_e32 v10, vcc, 0, v10, vcc
	v_add_u32_e32 v11, 0x100, v8
	v_add_u32_e32 v12, 0x100, v12
	v_lshlrev_b32_e32 v13, 4, v2
	s_addc_u32 s17, s17, s37
	v_add3_u32 v14, v4, s7, v3
	v_add3_u32 v15, v15, v2, s7
	s_branch .LBB11_10
.LBB11_9:                               ;   in Loop: Header=BB11_10 Depth=1
	s_or_b64 exec, exec, s[36:37]
	s_waitcnt lgkmcnt(0)
	; wave barrier
	s_waitcnt lgkmcnt(0)
	ds_read2_b32 v[2:3], v12 offset1:4
	ds_read_b96 v[16:18], v13
	ds_read_b32 v19, v12 offset:32
	s_add_i32 s28, s28, 1
	s_add_u32 s16, s16, 4
	s_addc_u32 s17, s17, 0
	s_waitcnt lgkmcnt(1)
	v_fmac_f32_e32 v5, v2, v16
	v_fmac_f32_e32 v5, v3, v17
	s_waitcnt lgkmcnt(0)
	v_fmac_f32_e32 v5, v19, v18
	v_add_u32_e32 v14, 12, v14
	s_cmp_ge_i32 s28, s15
	v_add_u32_e32 v15, 12, v15
	s_waitcnt lgkmcnt(0)
	; wave barrier
	s_cbranch_scc1 .LBB11_18
.LBB11_10:                              ; =>This Inner Loop Header: Depth=1
	v_mov_b32_e32 v2, 0
	s_and_saveexec_b64 s[36:37], s[10:11]
	s_cbranch_execz .LBB11_16
; %bb.11:                               ;   in Loop: Header=BB11_10 Depth=1
	s_load_dword s7, s[16:17], 0x0
	s_and_b64 vcc, exec, s[34:35]
	s_waitcnt lgkmcnt(0)
	s_sub_i32 s7, s7, s22
	s_mul_i32 s38, s7, 3
	s_cbranch_vccz .LBB11_13
; %bb.12:                               ;   in Loop: Header=BB11_10 Depth=1
	v_add_u32_e32 v2, s38, v4
	v_ashrrev_i32_e32 v3, 31, v2
	v_mul_lo_u32 v16, v3, s12
	v_mul_lo_u32 v17, v2, s13
	v_mad_u64_u32 v[2:3], s[40:41], v2, s12, 0
	v_add3_u32 v3, v3, v17, v16
	v_lshlrev_b64 v[2:3], 2, v[2:3]
	v_add_co_u32_e32 v2, vcc, v6, v2
	v_addc_co_u32_e32 v3, vcc, v7, v3, vcc
	s_cbranch_execz .LBB11_14
	s_branch .LBB11_15
.LBB11_13:                              ;   in Loop: Header=BB11_10 Depth=1
                                        ; implicit-def: $vgpr2_vgpr3
.LBB11_14:                              ;   in Loop: Header=BB11_10 Depth=1
	s_ashr_i32 s39, s38, 31
	s_lshl_b64 s[38:39], s[38:39], 2
	v_mov_b32_e32 v3, s39
	v_add_co_u32_e32 v2, vcc, s38, v9
	v_addc_co_u32_e32 v3, vcc, v10, v3, vcc
.LBB11_15:                              ;   in Loop: Header=BB11_10 Depth=1
	global_load_dword v2, v[2:3], off
.LBB11_16:                              ;   in Loop: Header=BB11_10 Depth=1
	s_or_b64 exec, exec, s[36:37]
	s_waitcnt vmcnt(0)
	ds_write_b32 v8, v2
	s_and_saveexec_b64 s[36:37], s[30:31]
	s_cbranch_execz .LBB11_9
; %bb.17:                               ;   in Loop: Header=BB11_10 Depth=1
	v_cndmask_b32_e64 v2, v14, v15, s[8:9]
	v_ashrrev_i32_e32 v3, 31, v2
	v_lshlrev_b64 v[2:3], 2, v[2:3]
	v_mov_b32_e32 v16, s19
	v_add_co_u32_e32 v2, vcc, s18, v2
	v_addc_co_u32_e32 v3, vcc, v16, v3, vcc
	global_load_dword v2, v[2:3], off
	s_waitcnt vmcnt(0)
	ds_write_b32 v11, v2
	s_branch .LBB11_9
.LBB11_18:
	s_and_b64 s[0:1], s[2:3], s[0:1]
	s_and_b64 s[0:1], s[26:27], s[0:1]
	s_and_saveexec_b64 s[2:3], s[0:1]
	s_cbranch_execz .LBB11_22
; %bb.19:
	s_load_dwordx2 s[0:1], s[4:5], 0x58
	v_lshl_add_u32 v2, s6, 2, v4
	s_waitcnt lgkmcnt(0)
	v_mul_lo_u32 v3, v1, s0
	v_mul_lo_u32 v4, v0, s1
	v_mad_u64_u32 v[0:1], s[0:1], v0, s0, 0
	v_add3_u32 v1, v1, v4, v3
	v_cmp_neq_f32_e64 s[0:1], s14, 0
	s_and_b64 vcc, exec, s[0:1]
	v_ashrrev_i32_e32 v3, 31, v2
	v_mul_f32_e32 v4, s20, v5
	v_lshlrev_b64 v[0:1], 2, v[0:1]
	s_cbranch_vccz .LBB11_23
; %bb.20:
	v_mov_b32_e32 v5, s25
	v_add_co_u32_e32 v8, vcc, s24, v0
	v_addc_co_u32_e32 v5, vcc, v5, v1, vcc
	v_lshlrev_b64 v[6:7], 2, v[2:3]
	v_add_co_u32_e32 v6, vcc, v8, v6
	v_addc_co_u32_e32 v7, vcc, v5, v7, vcc
	global_load_dword v5, v[6:7], off
	s_waitcnt vmcnt(0)
	v_fma_f32 v5, s14, v5, v4
	global_store_dword v[6:7], v5, off
	s_cbranch_execnz .LBB11_22
.LBB11_21:
	v_mov_b32_e32 v5, s25
	v_add_co_u32_e32 v6, vcc, s24, v0
	v_addc_co_u32_e32 v5, vcc, v5, v1, vcc
	v_lshlrev_b64 v[0:1], 2, v[2:3]
	v_add_co_u32_e32 v0, vcc, v6, v0
	v_addc_co_u32_e32 v1, vcc, v5, v1, vcc
	global_store_dword v[0:1], v4, off
.LBB11_22:
	s_endpgm
.LBB11_23:
	s_branch .LBB11_21
	.section	.rodata,"a",@progbits
	.p2align	6, 0x0
	.amdhsa_kernel _ZN9rocsparseL29gebsrmm_small_blockdim_kernelILi4ELi3ELi4ELi16EfEEv20rocsparse_direction_20rocsparse_operation_iiNS_24const_host_device_scalarIT3_EEPKiS7_PKS4_iiS9_lS5_PS4_l21rocsparse_index_base_b
		.amdhsa_group_segment_fixed_size 320
		.amdhsa_private_segment_fixed_size 0
		.amdhsa_kernarg_size 104
		.amdhsa_user_sgpr_count 6
		.amdhsa_user_sgpr_private_segment_buffer 1
		.amdhsa_user_sgpr_dispatch_ptr 0
		.amdhsa_user_sgpr_queue_ptr 0
		.amdhsa_user_sgpr_kernarg_segment_ptr 1
		.amdhsa_user_sgpr_dispatch_id 0
		.amdhsa_user_sgpr_flat_scratch_init 0
		.amdhsa_user_sgpr_kernarg_preload_length 0
		.amdhsa_user_sgpr_kernarg_preload_offset 0
		.amdhsa_user_sgpr_private_segment_size 0
		.amdhsa_uses_dynamic_stack 0
		.amdhsa_system_sgpr_private_segment_wavefront_offset 0
		.amdhsa_system_sgpr_workgroup_id_x 1
		.amdhsa_system_sgpr_workgroup_id_y 1
		.amdhsa_system_sgpr_workgroup_id_z 0
		.amdhsa_system_sgpr_workgroup_info 0
		.amdhsa_system_vgpr_workitem_id 1
		.amdhsa_next_free_vgpr 20
		.amdhsa_next_free_sgpr 42
		.amdhsa_accum_offset 20
		.amdhsa_reserve_vcc 1
		.amdhsa_reserve_flat_scratch 0
		.amdhsa_float_round_mode_32 0
		.amdhsa_float_round_mode_16_64 0
		.amdhsa_float_denorm_mode_32 3
		.amdhsa_float_denorm_mode_16_64 3
		.amdhsa_dx10_clamp 1
		.amdhsa_ieee_mode 1
		.amdhsa_fp16_overflow 0
		.amdhsa_tg_split 0
		.amdhsa_exception_fp_ieee_invalid_op 0
		.amdhsa_exception_fp_denorm_src 0
		.amdhsa_exception_fp_ieee_div_zero 0
		.amdhsa_exception_fp_ieee_overflow 0
		.amdhsa_exception_fp_ieee_underflow 0
		.amdhsa_exception_fp_ieee_inexact 0
		.amdhsa_exception_int_div_zero 0
	.end_amdhsa_kernel
	.section	.text._ZN9rocsparseL29gebsrmm_small_blockdim_kernelILi4ELi3ELi4ELi16EfEEv20rocsparse_direction_20rocsparse_operation_iiNS_24const_host_device_scalarIT3_EEPKiS7_PKS4_iiS9_lS5_PS4_l21rocsparse_index_base_b,"axG",@progbits,_ZN9rocsparseL29gebsrmm_small_blockdim_kernelILi4ELi3ELi4ELi16EfEEv20rocsparse_direction_20rocsparse_operation_iiNS_24const_host_device_scalarIT3_EEPKiS7_PKS4_iiS9_lS5_PS4_l21rocsparse_index_base_b,comdat
.Lfunc_end11:
	.size	_ZN9rocsparseL29gebsrmm_small_blockdim_kernelILi4ELi3ELi4ELi16EfEEv20rocsparse_direction_20rocsparse_operation_iiNS_24const_host_device_scalarIT3_EEPKiS7_PKS4_iiS9_lS5_PS4_l21rocsparse_index_base_b, .Lfunc_end11-_ZN9rocsparseL29gebsrmm_small_blockdim_kernelILi4ELi3ELi4ELi16EfEEv20rocsparse_direction_20rocsparse_operation_iiNS_24const_host_device_scalarIT3_EEPKiS7_PKS4_iiS9_lS5_PS4_l21rocsparse_index_base_b
                                        ; -- End function
	.section	.AMDGPU.csdata,"",@progbits
; Kernel info:
; codeLenInByte = 976
; NumSgprs: 46
; NumVgprs: 20
; NumAgprs: 0
; TotalNumVgprs: 20
; ScratchSize: 0
; MemoryBound: 0
; FloatMode: 240
; IeeeMode: 1
; LDSByteSize: 320 bytes/workgroup (compile time only)
; SGPRBlocks: 5
; VGPRBlocks: 2
; NumSGPRsForWavesPerEU: 46
; NumVGPRsForWavesPerEU: 20
; AccumOffset: 20
; Occupancy: 8
; WaveLimiterHint : 0
; COMPUTE_PGM_RSRC2:SCRATCH_EN: 0
; COMPUTE_PGM_RSRC2:USER_SGPR: 6
; COMPUTE_PGM_RSRC2:TRAP_HANDLER: 0
; COMPUTE_PGM_RSRC2:TGID_X_EN: 1
; COMPUTE_PGM_RSRC2:TGID_Y_EN: 1
; COMPUTE_PGM_RSRC2:TGID_Z_EN: 0
; COMPUTE_PGM_RSRC2:TIDIG_COMP_CNT: 1
; COMPUTE_PGM_RSRC3_GFX90A:ACCUM_OFFSET: 4
; COMPUTE_PGM_RSRC3_GFX90A:TG_SPLIT: 0
	.section	.text._ZN9rocsparseL29gebsrmm_small_blockdim_kernelILi1ELi2ELi2ELi16EdEEv20rocsparse_direction_20rocsparse_operation_iiNS_24const_host_device_scalarIT3_EEPKiS7_PKS4_iiS9_lS5_PS4_l21rocsparse_index_base_b,"axG",@progbits,_ZN9rocsparseL29gebsrmm_small_blockdim_kernelILi1ELi2ELi2ELi16EdEEv20rocsparse_direction_20rocsparse_operation_iiNS_24const_host_device_scalarIT3_EEPKiS7_PKS4_iiS9_lS5_PS4_l21rocsparse_index_base_b,comdat
	.globl	_ZN9rocsparseL29gebsrmm_small_blockdim_kernelILi1ELi2ELi2ELi16EdEEv20rocsparse_direction_20rocsparse_operation_iiNS_24const_host_device_scalarIT3_EEPKiS7_PKS4_iiS9_lS5_PS4_l21rocsparse_index_base_b ; -- Begin function _ZN9rocsparseL29gebsrmm_small_blockdim_kernelILi1ELi2ELi2ELi16EdEEv20rocsparse_direction_20rocsparse_operation_iiNS_24const_host_device_scalarIT3_EEPKiS7_PKS4_iiS9_lS5_PS4_l21rocsparse_index_base_b
	.p2align	8
	.type	_ZN9rocsparseL29gebsrmm_small_blockdim_kernelILi1ELi2ELi2ELi16EdEEv20rocsparse_direction_20rocsparse_operation_iiNS_24const_host_device_scalarIT3_EEPKiS7_PKS4_iiS9_lS5_PS4_l21rocsparse_index_base_b,@function
_ZN9rocsparseL29gebsrmm_small_blockdim_kernelILi1ELi2ELi2ELi16EdEEv20rocsparse_direction_20rocsparse_operation_iiNS_24const_host_device_scalarIT3_EEPKiS7_PKS4_iiS9_lS5_PS4_l21rocsparse_index_base_b: ; @_ZN9rocsparseL29gebsrmm_small_blockdim_kernelILi1ELi2ELi2ELi16EdEEv20rocsparse_direction_20rocsparse_operation_iiNS_24const_host_device_scalarIT3_EEPKiS7_PKS4_iiS9_lS5_PS4_l21rocsparse_index_base_b
; %bb.0:
	s_load_dwordx2 s[20:21], s[4:5], 0x60
	s_load_dwordx2 s[2:3], s[4:5], 0x10
	s_load_dwordx4 s[8:11], s[4:5], 0x40
	s_waitcnt lgkmcnt(0)
	s_bitcmp1_b32 s21, 0
	s_cselect_b64 s[12:13], -1, 0
	s_xor_b64 s[0:1], s[12:13], -1
	s_and_b64 vcc, exec, s[12:13]
	v_pk_mov_b32 v[4:5], s[2:3], s[2:3] op_sel:[0,1]
	s_cbranch_vccnz .LBB12_2
; %bb.1:
	v_pk_mov_b32 v[2:3], s[2:3], s[2:3] op_sel:[0,1]
	flat_load_dwordx2 v[4:5], v[2:3]
.LBB12_2:
	s_andn2_b64 vcc, exec, s[0:1]
	v_pk_mov_b32 v[2:3], s[10:11], s[10:11] op_sel:[0,1]
	s_cbranch_vccnz .LBB12_4
; %bb.3:
	v_pk_mov_b32 v[2:3], s[10:11], s[10:11] op_sel:[0,1]
	flat_load_dwordx2 v[2:3], v[2:3]
.LBB12_4:
	s_waitcnt vmcnt(0) lgkmcnt(0)
	v_cmp_neq_f64_e32 vcc, 0, v[4:5]
	v_cmp_neq_f64_e64 s[0:1], 1.0, v[2:3]
	s_or_b64 s[0:1], vcc, s[0:1]
	s_and_saveexec_b64 s[2:3], s[0:1]
	s_cbranch_execz .LBB12_23
; %bb.5:
	s_load_dwordx4 s[16:19], s[4:5], 0x4
	s_mov_b32 s24, 0
	s_mov_b32 s21, 0
	s_waitcnt lgkmcnt(0)
	s_cmp_lt_i32 s6, s17
	s_cselect_b64 s[22:23], -1, 0
	s_cmp_ge_i32 s6, s17
	s_cbranch_scc1 .LBB12_7
; %bb.6:
	s_load_dwordx2 s[2:3], s[4:5], 0x18
	s_mov_b32 s0, s7
	s_ashr_i32 s7, s6, 31
	s_lshl_b64 s[10:11], s[6:7], 2
	s_mov_b32 s7, s0
	s_waitcnt lgkmcnt(0)
	s_add_u32 s0, s2, s10
	s_addc_u32 s1, s3, s11
	s_load_dwordx2 s[0:1], s[0:1], 0x0
	s_waitcnt lgkmcnt(0)
	s_sub_i32 s24, s0, s20
	s_sub_i32 s21, s1, s20
.LBB12_7:
	s_load_dwordx2 s[10:11], s[4:5], 0x50
	v_bfe_u32 v8, v0, 10, 10
	v_and_b32_e32 v14, 0x3ff, v0
	v_lshl_add_u32 v0, s7, 4, v8
	v_ashrrev_i32_e32 v1, 31, v0
	v_cmp_gt_i32_e64 s[0:1], s18, v0
	v_cmp_eq_u32_e64 s[2:3], 0, v14
	s_cmp_ge_i32 s24, s21
	v_pk_mov_b32 v[6:7], 0, 0
	s_cbranch_scc1 .LBB12_18
; %bb.8:
	s_load_dwordx4 s[12:15], s[4:5], 0x20
	s_load_dwordx2 s[28:29], s[4:5], 0x38
	v_cmp_gt_u32_e32 vcc, 2, v14
	s_and_b64 s[18:19], vcc, s[0:1]
	v_cmp_gt_u32_e32 vcc, 2, v8
	v_lshlrev_b64 v[6:7], 3, v[0:1]
	s_and_b64 s[26:27], s[2:3], vcc
	s_waitcnt lgkmcnt(0)
	v_mov_b32_e32 v9, s29
	v_add_co_u32_e32 v15, vcc, s28, v6
	v_addc_co_u32_e32 v16, vcc, v9, v7, vcc
	v_mul_lo_u32 v10, v1, s8
	v_mul_lo_u32 v11, v0, s9
	v_mad_u64_u32 v[6:7], s[30:31], v0, s8, 0
	v_add3_u32 v7, v7, v11, v10
	s_cmpk_lg_i32 s16, 0x6f
	v_lshlrev_b64 v[6:7], 3, v[6:7]
	s_cselect_b64 s[16:17], -1, 0
	v_add_co_u32_e32 v6, vcc, s28, v6
	s_ashr_i32 s25, s24, 31
	v_lshlrev_b32_e32 v10, 1, v8
	v_addc_co_u32_e32 v7, vcc, v9, v7, vcc
	v_lshlrev_b32_e32 v9, 3, v14
	s_lshl_b64 s[28:29], s[24:25], 2
	v_add_lshl_u32 v17, v10, v14, 3
	v_add_co_u32_e32 v18, vcc, v6, v9
	s_add_u32 s12, s12, s28
	v_pk_mov_b32 v[10:11], 0, 0
	v_addc_co_u32_e32 v19, vcc, 0, v7, vcc
	v_add_u32_e32 v20, 0x100, v17
	v_add_u32_e32 v21, 0x100, v9
	v_lshlrev_b32_e32 v22, 4, v8
	s_addc_u32 s13, s13, s29
	v_lshl_add_u32 v8, s24, 1, v8
	v_pk_mov_b32 v[6:7], v[10:11], v[10:11] op_sel:[0,1]
	s_branch .LBB12_10
.LBB12_9:                               ;   in Loop: Header=BB12_10 Depth=1
	s_or_b64 exec, exec, s[28:29]
	s_waitcnt lgkmcnt(0)
	; wave barrier
	s_waitcnt lgkmcnt(0)
	ds_read_b128 v[24:27], v22
	ds_read2_b64 v[28:31], v21 offset1:2
	s_add_i32 s24, s24, 1
	s_add_u32 s12, s12, 4
	s_addc_u32 s13, s13, 0
	s_cmp_ge_i32 s24, s21
	s_waitcnt lgkmcnt(0)
	v_fmac_f64_e32 v[6:7], v[28:29], v[24:25]
	v_fmac_f64_e32 v[6:7], v[30:31], v[26:27]
	v_add_u32_e32 v8, 2, v8
	s_waitcnt lgkmcnt(0)
	; wave barrier
	s_cbranch_scc1 .LBB12_18
.LBB12_10:                              ; =>This Inner Loop Header: Depth=1
	v_pk_mov_b32 v[12:13], v[10:11], v[10:11] op_sel:[0,1]
	s_and_saveexec_b64 s[28:29], s[18:19]
	s_cbranch_execz .LBB12_16
; %bb.11:                               ;   in Loop: Header=BB12_10 Depth=1
	s_load_dword s7, s[12:13], 0x0
	s_and_b64 vcc, exec, s[16:17]
	s_waitcnt lgkmcnt(0)
	s_sub_i32 s7, s7, s20
	s_lshl_b32 s30, s7, 1
	s_cbranch_vccz .LBB12_13
; %bb.12:                               ;   in Loop: Header=BB12_10 Depth=1
	v_or_b32_e32 v9, s30, v14
	s_ashr_i32 s7, s30, 31
	v_mul_lo_u32 v23, v9, s9
	s_mul_i32 s7, s7, s8
	v_mad_u64_u32 v[12:13], s[34:35], v9, s8, 0
	v_add3_u32 v13, v13, v23, s7
	v_lshlrev_b64 v[12:13], 3, v[12:13]
	v_add_co_u32_e32 v12, vcc, v15, v12
	v_addc_co_u32_e32 v13, vcc, v16, v13, vcc
	s_cbranch_execz .LBB12_14
	s_branch .LBB12_15
.LBB12_13:                              ;   in Loop: Header=BB12_10 Depth=1
                                        ; implicit-def: $vgpr12_vgpr13
.LBB12_14:                              ;   in Loop: Header=BB12_10 Depth=1
	s_ashr_i32 s31, s30, 31
	s_lshl_b64 s[30:31], s[30:31], 3
	v_mov_b32_e32 v9, s31
	v_add_co_u32_e32 v12, vcc, s30, v18
	v_addc_co_u32_e32 v13, vcc, v19, v9, vcc
.LBB12_15:                              ;   in Loop: Header=BB12_10 Depth=1
	global_load_dwordx2 v[12:13], v[12:13], off
.LBB12_16:                              ;   in Loop: Header=BB12_10 Depth=1
	s_or_b64 exec, exec, s[28:29]
	s_waitcnt vmcnt(0)
	ds_write_b64 v17, v[12:13]
	s_and_saveexec_b64 s[28:29], s[26:27]
	s_cbranch_execz .LBB12_9
; %bb.17:                               ;   in Loop: Header=BB12_10 Depth=1
	v_ashrrev_i32_e32 v9, 31, v8
	v_lshlrev_b64 v[12:13], 3, v[8:9]
	v_mov_b32_e32 v9, s15
	v_add_co_u32_e32 v12, vcc, s14, v12
	v_addc_co_u32_e32 v13, vcc, v9, v13, vcc
	global_load_dwordx2 v[12:13], v[12:13], off
	s_waitcnt vmcnt(0)
	ds_write_b64 v20, v[12:13]
	s_branch .LBB12_9
.LBB12_18:
	s_and_b64 s[0:1], s[2:3], s[0:1]
	s_and_b64 s[0:1], s[22:23], s[0:1]
	s_and_b64 exec, exec, s[0:1]
	s_cbranch_execz .LBB12_23
; %bb.19:
	s_load_dwordx2 s[0:1], s[4:5], 0x58
	v_add_u32_e32 v8, s6, v14
	v_cmp_neq_f64_e32 vcc, 0, v[2:3]
	s_waitcnt lgkmcnt(0)
	v_mul_lo_u32 v1, v1, s0
	v_mul_lo_u32 v9, v0, s1
	v_mad_u64_u32 v[10:11], s[0:1], v0, s0, 0
	v_add3_u32 v11, v11, v9, v1
	v_ashrrev_i32_e32 v9, 31, v8
	v_mul_f64 v[0:1], v[4:5], v[6:7]
	v_lshlrev_b64 v[4:5], 3, v[10:11]
	s_and_saveexec_b64 s[0:1], vcc
	s_xor_b64 s[0:1], exec, s[0:1]
	s_cbranch_execz .LBB12_21
; %bb.20:
	v_mov_b32_e32 v6, s11
	v_add_co_u32_e32 v7, vcc, s10, v4
	v_addc_co_u32_e32 v6, vcc, v6, v5, vcc
	v_lshlrev_b64 v[4:5], 3, v[8:9]
	v_add_co_u32_e32 v4, vcc, v7, v4
	v_addc_co_u32_e32 v5, vcc, v6, v5, vcc
	global_load_dwordx2 v[6:7], v[4:5], off
                                        ; implicit-def: $vgpr8
	s_waitcnt vmcnt(0)
	v_fmac_f64_e32 v[0:1], v[2:3], v[6:7]
	global_store_dwordx2 v[4:5], v[0:1], off
                                        ; implicit-def: $vgpr4_vgpr5
                                        ; implicit-def: $vgpr0_vgpr1
.LBB12_21:
	s_andn2_saveexec_b64 s[0:1], s[0:1]
	s_cbranch_execz .LBB12_23
; %bb.22:
	v_mov_b32_e32 v2, s11
	v_add_co_u32_e32 v4, vcc, s10, v4
	v_addc_co_u32_e32 v5, vcc, v2, v5, vcc
	v_lshlrev_b64 v[2:3], 3, v[8:9]
	v_add_co_u32_e32 v2, vcc, v4, v2
	v_addc_co_u32_e32 v3, vcc, v5, v3, vcc
	global_store_dwordx2 v[2:3], v[0:1], off
.LBB12_23:
	s_endpgm
	.section	.rodata,"a",@progbits
	.p2align	6, 0x0
	.amdhsa_kernel _ZN9rocsparseL29gebsrmm_small_blockdim_kernelILi1ELi2ELi2ELi16EdEEv20rocsparse_direction_20rocsparse_operation_iiNS_24const_host_device_scalarIT3_EEPKiS7_PKS4_iiS9_lS5_PS4_l21rocsparse_index_base_b
		.amdhsa_group_segment_fixed_size 288
		.amdhsa_private_segment_fixed_size 0
		.amdhsa_kernarg_size 104
		.amdhsa_user_sgpr_count 6
		.amdhsa_user_sgpr_private_segment_buffer 1
		.amdhsa_user_sgpr_dispatch_ptr 0
		.amdhsa_user_sgpr_queue_ptr 0
		.amdhsa_user_sgpr_kernarg_segment_ptr 1
		.amdhsa_user_sgpr_dispatch_id 0
		.amdhsa_user_sgpr_flat_scratch_init 0
		.amdhsa_user_sgpr_kernarg_preload_length 0
		.amdhsa_user_sgpr_kernarg_preload_offset 0
		.amdhsa_user_sgpr_private_segment_size 0
		.amdhsa_uses_dynamic_stack 0
		.amdhsa_system_sgpr_private_segment_wavefront_offset 0
		.amdhsa_system_sgpr_workgroup_id_x 1
		.amdhsa_system_sgpr_workgroup_id_y 1
		.amdhsa_system_sgpr_workgroup_id_z 0
		.amdhsa_system_sgpr_workgroup_info 0
		.amdhsa_system_vgpr_workitem_id 1
		.amdhsa_next_free_vgpr 32
		.amdhsa_next_free_sgpr 36
		.amdhsa_accum_offset 32
		.amdhsa_reserve_vcc 1
		.amdhsa_reserve_flat_scratch 0
		.amdhsa_float_round_mode_32 0
		.amdhsa_float_round_mode_16_64 0
		.amdhsa_float_denorm_mode_32 3
		.amdhsa_float_denorm_mode_16_64 3
		.amdhsa_dx10_clamp 1
		.amdhsa_ieee_mode 1
		.amdhsa_fp16_overflow 0
		.amdhsa_tg_split 0
		.amdhsa_exception_fp_ieee_invalid_op 0
		.amdhsa_exception_fp_denorm_src 0
		.amdhsa_exception_fp_ieee_div_zero 0
		.amdhsa_exception_fp_ieee_overflow 0
		.amdhsa_exception_fp_ieee_underflow 0
		.amdhsa_exception_fp_ieee_inexact 0
		.amdhsa_exception_int_div_zero 0
	.end_amdhsa_kernel
	.section	.text._ZN9rocsparseL29gebsrmm_small_blockdim_kernelILi1ELi2ELi2ELi16EdEEv20rocsparse_direction_20rocsparse_operation_iiNS_24const_host_device_scalarIT3_EEPKiS7_PKS4_iiS9_lS5_PS4_l21rocsparse_index_base_b,"axG",@progbits,_ZN9rocsparseL29gebsrmm_small_blockdim_kernelILi1ELi2ELi2ELi16EdEEv20rocsparse_direction_20rocsparse_operation_iiNS_24const_host_device_scalarIT3_EEPKiS7_PKS4_iiS9_lS5_PS4_l21rocsparse_index_base_b,comdat
.Lfunc_end12:
	.size	_ZN9rocsparseL29gebsrmm_small_blockdim_kernelILi1ELi2ELi2ELi16EdEEv20rocsparse_direction_20rocsparse_operation_iiNS_24const_host_device_scalarIT3_EEPKiS7_PKS4_iiS9_lS5_PS4_l21rocsparse_index_base_b, .Lfunc_end12-_ZN9rocsparseL29gebsrmm_small_blockdim_kernelILi1ELi2ELi2ELi16EdEEv20rocsparse_direction_20rocsparse_operation_iiNS_24const_host_device_scalarIT3_EEPKiS7_PKS4_iiS9_lS5_PS4_l21rocsparse_index_base_b
                                        ; -- End function
	.section	.AMDGPU.csdata,"",@progbits
; Kernel info:
; codeLenInByte = 964
; NumSgprs: 40
; NumVgprs: 32
; NumAgprs: 0
; TotalNumVgprs: 32
; ScratchSize: 0
; MemoryBound: 0
; FloatMode: 240
; IeeeMode: 1
; LDSByteSize: 288 bytes/workgroup (compile time only)
; SGPRBlocks: 4
; VGPRBlocks: 3
; NumSGPRsForWavesPerEU: 40
; NumVGPRsForWavesPerEU: 32
; AccumOffset: 32
; Occupancy: 8
; WaveLimiterHint : 1
; COMPUTE_PGM_RSRC2:SCRATCH_EN: 0
; COMPUTE_PGM_RSRC2:USER_SGPR: 6
; COMPUTE_PGM_RSRC2:TRAP_HANDLER: 0
; COMPUTE_PGM_RSRC2:TGID_X_EN: 1
; COMPUTE_PGM_RSRC2:TGID_Y_EN: 1
; COMPUTE_PGM_RSRC2:TGID_Z_EN: 0
; COMPUTE_PGM_RSRC2:TIDIG_COMP_CNT: 1
; COMPUTE_PGM_RSRC3_GFX90A:ACCUM_OFFSET: 7
; COMPUTE_PGM_RSRC3_GFX90A:TG_SPLIT: 0
	.section	.text._ZN9rocsparseL29gebsrmm_small_blockdim_kernelILi1ELi3ELi3ELi16EdEEv20rocsparse_direction_20rocsparse_operation_iiNS_24const_host_device_scalarIT3_EEPKiS7_PKS4_iiS9_lS5_PS4_l21rocsparse_index_base_b,"axG",@progbits,_ZN9rocsparseL29gebsrmm_small_blockdim_kernelILi1ELi3ELi3ELi16EdEEv20rocsparse_direction_20rocsparse_operation_iiNS_24const_host_device_scalarIT3_EEPKiS7_PKS4_iiS9_lS5_PS4_l21rocsparse_index_base_b,comdat
	.globl	_ZN9rocsparseL29gebsrmm_small_blockdim_kernelILi1ELi3ELi3ELi16EdEEv20rocsparse_direction_20rocsparse_operation_iiNS_24const_host_device_scalarIT3_EEPKiS7_PKS4_iiS9_lS5_PS4_l21rocsparse_index_base_b ; -- Begin function _ZN9rocsparseL29gebsrmm_small_blockdim_kernelILi1ELi3ELi3ELi16EdEEv20rocsparse_direction_20rocsparse_operation_iiNS_24const_host_device_scalarIT3_EEPKiS7_PKS4_iiS9_lS5_PS4_l21rocsparse_index_base_b
	.p2align	8
	.type	_ZN9rocsparseL29gebsrmm_small_blockdim_kernelILi1ELi3ELi3ELi16EdEEv20rocsparse_direction_20rocsparse_operation_iiNS_24const_host_device_scalarIT3_EEPKiS7_PKS4_iiS9_lS5_PS4_l21rocsparse_index_base_b,@function
_ZN9rocsparseL29gebsrmm_small_blockdim_kernelILi1ELi3ELi3ELi16EdEEv20rocsparse_direction_20rocsparse_operation_iiNS_24const_host_device_scalarIT3_EEPKiS7_PKS4_iiS9_lS5_PS4_l21rocsparse_index_base_b: ; @_ZN9rocsparseL29gebsrmm_small_blockdim_kernelILi1ELi3ELi3ELi16EdEEv20rocsparse_direction_20rocsparse_operation_iiNS_24const_host_device_scalarIT3_EEPKiS7_PKS4_iiS9_lS5_PS4_l21rocsparse_index_base_b
; %bb.0:
	s_load_dwordx2 s[20:21], s[4:5], 0x60
	s_load_dwordx2 s[2:3], s[4:5], 0x10
	s_load_dwordx4 s[8:11], s[4:5], 0x40
	s_waitcnt lgkmcnt(0)
	s_bitcmp1_b32 s21, 0
	s_cselect_b64 s[12:13], -1, 0
	s_xor_b64 s[0:1], s[12:13], -1
	s_and_b64 vcc, exec, s[12:13]
	v_pk_mov_b32 v[4:5], s[2:3], s[2:3] op_sel:[0,1]
	s_cbranch_vccnz .LBB13_2
; %bb.1:
	v_pk_mov_b32 v[2:3], s[2:3], s[2:3] op_sel:[0,1]
	flat_load_dwordx2 v[4:5], v[2:3]
.LBB13_2:
	s_andn2_b64 vcc, exec, s[0:1]
	v_pk_mov_b32 v[2:3], s[10:11], s[10:11] op_sel:[0,1]
	s_cbranch_vccnz .LBB13_4
; %bb.3:
	v_pk_mov_b32 v[2:3], s[10:11], s[10:11] op_sel:[0,1]
	flat_load_dwordx2 v[2:3], v[2:3]
.LBB13_4:
	s_waitcnt vmcnt(0) lgkmcnt(0)
	v_cmp_neq_f64_e32 vcc, 0, v[4:5]
	v_cmp_neq_f64_e64 s[0:1], 1.0, v[2:3]
	s_or_b64 s[0:1], vcc, s[0:1]
	s_and_saveexec_b64 s[2:3], s[0:1]
	s_cbranch_execz .LBB13_23
; %bb.5:
	s_load_dwordx4 s[16:19], s[4:5], 0x4
	s_mov_b32 s24, 0
	s_mov_b32 s21, 0
	s_waitcnt lgkmcnt(0)
	s_cmp_lt_i32 s6, s17
	s_cselect_b64 s[22:23], -1, 0
	s_cmp_ge_i32 s6, s17
	s_cbranch_scc1 .LBB13_7
; %bb.6:
	s_load_dwordx2 s[2:3], s[4:5], 0x18
	s_mov_b32 s0, s7
	s_ashr_i32 s7, s6, 31
	s_lshl_b64 s[10:11], s[6:7], 2
	s_mov_b32 s7, s0
	s_waitcnt lgkmcnt(0)
	s_add_u32 s0, s2, s10
	s_addc_u32 s1, s3, s11
	s_load_dwordx2 s[0:1], s[0:1], 0x0
	s_waitcnt lgkmcnt(0)
	s_sub_i32 s24, s0, s20
	s_sub_i32 s21, s1, s20
.LBB13_7:
	s_load_dwordx2 s[10:11], s[4:5], 0x50
	v_bfe_u32 v8, v0, 10, 10
	v_and_b32_e32 v14, 0x3ff, v0
	v_lshl_add_u32 v0, s7, 4, v8
	v_ashrrev_i32_e32 v1, 31, v0
	v_cmp_gt_i32_e64 s[0:1], s18, v0
	v_cmp_eq_u32_e64 s[2:3], 0, v14
	s_cmp_ge_i32 s24, s21
	v_pk_mov_b32 v[6:7], 0, 0
	s_cbranch_scc1 .LBB13_18
; %bb.8:
	s_load_dwordx4 s[12:15], s[4:5], 0x20
	s_load_dwordx2 s[28:29], s[4:5], 0x38
	v_cmp_gt_u32_e32 vcc, 3, v14
	s_and_b64 s[18:19], vcc, s[0:1]
	v_cmp_gt_u32_e32 vcc, 3, v8
	v_lshlrev_b64 v[6:7], 3, v[0:1]
	s_and_b64 s[26:27], s[2:3], vcc
	s_waitcnt lgkmcnt(0)
	v_mov_b32_e32 v9, s29
	v_add_co_u32_e32 v15, vcc, s28, v6
	v_addc_co_u32_e32 v16, vcc, v9, v7, vcc
	v_mul_lo_u32 v10, v1, s8
	v_mul_lo_u32 v11, v0, s9
	v_mad_u64_u32 v[6:7], s[30:31], v0, s8, 0
	v_add3_u32 v7, v7, v11, v10
	s_cmpk_lg_i32 s16, 0x6f
	v_lshlrev_b64 v[6:7], 3, v[6:7]
	s_cselect_b64 s[16:17], -1, 0
	v_add_co_u32_e32 v6, vcc, s28, v6
	s_ashr_i32 s25, s24, 31
	v_mul_u32_u24_e32 v10, 3, v8
	v_addc_co_u32_e32 v7, vcc, v9, v7, vcc
	v_lshlrev_b32_e32 v9, 3, v14
	s_lshl_b64 s[28:29], s[24:25], 2
	v_add_lshl_u32 v17, v10, v14, 3
	v_add_co_u32_e32 v18, vcc, v6, v9
	v_lshlrev_b32_e32 v22, 3, v10
	s_add_u32 s12, s12, s28
	v_pk_mov_b32 v[10:11], 0, 0
	v_addc_co_u32_e32 v19, vcc, 0, v7, vcc
	v_add_u32_e32 v20, 0x180, v17
	v_add_u32_e32 v21, 0x180, v9
	s_addc_u32 s13, s13, s29
	v_mad_u64_u32 v[8:9], s[28:29], s24, 3, v[8:9]
	v_pk_mov_b32 v[6:7], v[10:11], v[10:11] op_sel:[0,1]
	s_branch .LBB13_10
.LBB13_9:                               ;   in Loop: Header=BB13_10 Depth=1
	s_or_b64 exec, exec, s[28:29]
	s_waitcnt lgkmcnt(0)
	; wave barrier
	s_waitcnt lgkmcnt(0)
	ds_read2_b64 v[24:27], v21 offset1:3
	ds_read2_b64 v[28:31], v22 offset1:1
	ds_read_b64 v[12:13], v21 offset:48
	ds_read_b64 v[32:33], v22 offset:16
	s_add_i32 s24, s24, 1
	s_add_u32 s12, s12, 4
	s_waitcnt lgkmcnt(2)
	v_fmac_f64_e32 v[6:7], v[24:25], v[28:29]
	v_fmac_f64_e32 v[6:7], v[26:27], v[30:31]
	s_addc_u32 s13, s13, 0
	s_waitcnt lgkmcnt(0)
	v_fmac_f64_e32 v[6:7], v[12:13], v[32:33]
	s_cmp_ge_i32 s24, s21
	v_add_u32_e32 v8, 3, v8
	s_waitcnt lgkmcnt(0)
	; wave barrier
	s_cbranch_scc1 .LBB13_18
.LBB13_10:                              ; =>This Inner Loop Header: Depth=1
	v_pk_mov_b32 v[12:13], v[10:11], v[10:11] op_sel:[0,1]
	s_and_saveexec_b64 s[28:29], s[18:19]
	s_cbranch_execz .LBB13_16
; %bb.11:                               ;   in Loop: Header=BB13_10 Depth=1
	s_load_dword s7, s[12:13], 0x0
	s_and_b64 vcc, exec, s[16:17]
	s_waitcnt lgkmcnt(0)
	s_sub_i32 s7, s7, s20
	s_mul_i32 s30, s7, 3
	s_cbranch_vccz .LBB13_13
; %bb.12:                               ;   in Loop: Header=BB13_10 Depth=1
	v_add_u32_e32 v9, s30, v14
	v_ashrrev_i32_e32 v12, 31, v9
	v_mul_lo_u32 v23, v12, s8
	v_mul_lo_u32 v24, v9, s9
	v_mad_u64_u32 v[12:13], s[34:35], v9, s8, 0
	v_add3_u32 v13, v13, v24, v23
	v_lshlrev_b64 v[12:13], 3, v[12:13]
	v_add_co_u32_e32 v12, vcc, v15, v12
	v_addc_co_u32_e32 v13, vcc, v16, v13, vcc
	s_cbranch_execz .LBB13_14
	s_branch .LBB13_15
.LBB13_13:                              ;   in Loop: Header=BB13_10 Depth=1
                                        ; implicit-def: $vgpr12_vgpr13
.LBB13_14:                              ;   in Loop: Header=BB13_10 Depth=1
	s_ashr_i32 s31, s30, 31
	s_lshl_b64 s[30:31], s[30:31], 3
	v_mov_b32_e32 v9, s31
	v_add_co_u32_e32 v12, vcc, s30, v18
	v_addc_co_u32_e32 v13, vcc, v19, v9, vcc
.LBB13_15:                              ;   in Loop: Header=BB13_10 Depth=1
	global_load_dwordx2 v[12:13], v[12:13], off
.LBB13_16:                              ;   in Loop: Header=BB13_10 Depth=1
	s_or_b64 exec, exec, s[28:29]
	s_waitcnt vmcnt(0)
	ds_write_b64 v17, v[12:13]
	s_and_saveexec_b64 s[28:29], s[26:27]
	s_cbranch_execz .LBB13_9
; %bb.17:                               ;   in Loop: Header=BB13_10 Depth=1
	v_ashrrev_i32_e32 v9, 31, v8
	v_lshlrev_b64 v[12:13], 3, v[8:9]
	v_mov_b32_e32 v9, s15
	v_add_co_u32_e32 v12, vcc, s14, v12
	v_addc_co_u32_e32 v13, vcc, v9, v13, vcc
	global_load_dwordx2 v[12:13], v[12:13], off
	s_waitcnt vmcnt(0)
	ds_write_b64 v20, v[12:13]
	s_branch .LBB13_9
.LBB13_18:
	s_and_b64 s[0:1], s[2:3], s[0:1]
	s_and_b64 s[0:1], s[22:23], s[0:1]
	s_and_b64 exec, exec, s[0:1]
	s_cbranch_execz .LBB13_23
; %bb.19:
	s_load_dwordx2 s[0:1], s[4:5], 0x58
	v_add_u32_e32 v8, s6, v14
	v_cmp_neq_f64_e32 vcc, 0, v[2:3]
	s_waitcnt lgkmcnt(0)
	v_mul_lo_u32 v1, v1, s0
	v_mul_lo_u32 v9, v0, s1
	v_mad_u64_u32 v[10:11], s[0:1], v0, s0, 0
	v_add3_u32 v11, v11, v9, v1
	v_ashrrev_i32_e32 v9, 31, v8
	v_mul_f64 v[0:1], v[4:5], v[6:7]
	v_lshlrev_b64 v[4:5], 3, v[10:11]
	s_and_saveexec_b64 s[0:1], vcc
	s_xor_b64 s[0:1], exec, s[0:1]
	s_cbranch_execz .LBB13_21
; %bb.20:
	v_mov_b32_e32 v6, s11
	v_add_co_u32_e32 v7, vcc, s10, v4
	v_addc_co_u32_e32 v6, vcc, v6, v5, vcc
	v_lshlrev_b64 v[4:5], 3, v[8:9]
	v_add_co_u32_e32 v4, vcc, v7, v4
	v_addc_co_u32_e32 v5, vcc, v6, v5, vcc
	global_load_dwordx2 v[6:7], v[4:5], off
                                        ; implicit-def: $vgpr8
	s_waitcnt vmcnt(0)
	v_fmac_f64_e32 v[0:1], v[2:3], v[6:7]
	global_store_dwordx2 v[4:5], v[0:1], off
                                        ; implicit-def: $vgpr4_vgpr5
                                        ; implicit-def: $vgpr0_vgpr1
.LBB13_21:
	s_andn2_saveexec_b64 s[0:1], s[0:1]
	s_cbranch_execz .LBB13_23
; %bb.22:
	v_mov_b32_e32 v2, s11
	v_add_co_u32_e32 v4, vcc, s10, v4
	v_addc_co_u32_e32 v5, vcc, v2, v5, vcc
	v_lshlrev_b64 v[2:3], 3, v[8:9]
	v_add_co_u32_e32 v2, vcc, v4, v2
	v_addc_co_u32_e32 v3, vcc, v5, v3, vcc
	global_store_dwordx2 v[2:3], v[0:1], off
.LBB13_23:
	s_endpgm
	.section	.rodata,"a",@progbits
	.p2align	6, 0x0
	.amdhsa_kernel _ZN9rocsparseL29gebsrmm_small_blockdim_kernelILi1ELi3ELi3ELi16EdEEv20rocsparse_direction_20rocsparse_operation_iiNS_24const_host_device_scalarIT3_EEPKiS7_PKS4_iiS9_lS5_PS4_l21rocsparse_index_base_b
		.amdhsa_group_segment_fixed_size 456
		.amdhsa_private_segment_fixed_size 0
		.amdhsa_kernarg_size 104
		.amdhsa_user_sgpr_count 6
		.amdhsa_user_sgpr_private_segment_buffer 1
		.amdhsa_user_sgpr_dispatch_ptr 0
		.amdhsa_user_sgpr_queue_ptr 0
		.amdhsa_user_sgpr_kernarg_segment_ptr 1
		.amdhsa_user_sgpr_dispatch_id 0
		.amdhsa_user_sgpr_flat_scratch_init 0
		.amdhsa_user_sgpr_kernarg_preload_length 0
		.amdhsa_user_sgpr_kernarg_preload_offset 0
		.amdhsa_user_sgpr_private_segment_size 0
		.amdhsa_uses_dynamic_stack 0
		.amdhsa_system_sgpr_private_segment_wavefront_offset 0
		.amdhsa_system_sgpr_workgroup_id_x 1
		.amdhsa_system_sgpr_workgroup_id_y 1
		.amdhsa_system_sgpr_workgroup_id_z 0
		.amdhsa_system_sgpr_workgroup_info 0
		.amdhsa_system_vgpr_workitem_id 1
		.amdhsa_next_free_vgpr 34
		.amdhsa_next_free_sgpr 36
		.amdhsa_accum_offset 36
		.amdhsa_reserve_vcc 1
		.amdhsa_reserve_flat_scratch 0
		.amdhsa_float_round_mode_32 0
		.amdhsa_float_round_mode_16_64 0
		.amdhsa_float_denorm_mode_32 3
		.amdhsa_float_denorm_mode_16_64 3
		.amdhsa_dx10_clamp 1
		.amdhsa_ieee_mode 1
		.amdhsa_fp16_overflow 0
		.amdhsa_tg_split 0
		.amdhsa_exception_fp_ieee_invalid_op 0
		.amdhsa_exception_fp_denorm_src 0
		.amdhsa_exception_fp_ieee_div_zero 0
		.amdhsa_exception_fp_ieee_overflow 0
		.amdhsa_exception_fp_ieee_underflow 0
		.amdhsa_exception_fp_ieee_inexact 0
		.amdhsa_exception_int_div_zero 0
	.end_amdhsa_kernel
	.section	.text._ZN9rocsparseL29gebsrmm_small_blockdim_kernelILi1ELi3ELi3ELi16EdEEv20rocsparse_direction_20rocsparse_operation_iiNS_24const_host_device_scalarIT3_EEPKiS7_PKS4_iiS9_lS5_PS4_l21rocsparse_index_base_b,"axG",@progbits,_ZN9rocsparseL29gebsrmm_small_blockdim_kernelILi1ELi3ELi3ELi16EdEEv20rocsparse_direction_20rocsparse_operation_iiNS_24const_host_device_scalarIT3_EEPKiS7_PKS4_iiS9_lS5_PS4_l21rocsparse_index_base_b,comdat
.Lfunc_end13:
	.size	_ZN9rocsparseL29gebsrmm_small_blockdim_kernelILi1ELi3ELi3ELi16EdEEv20rocsparse_direction_20rocsparse_operation_iiNS_24const_host_device_scalarIT3_EEPKiS7_PKS4_iiS9_lS5_PS4_l21rocsparse_index_base_b, .Lfunc_end13-_ZN9rocsparseL29gebsrmm_small_blockdim_kernelILi1ELi3ELi3ELi16EdEEv20rocsparse_direction_20rocsparse_operation_iiNS_24const_host_device_scalarIT3_EEPKiS7_PKS4_iiS9_lS5_PS4_l21rocsparse_index_base_b
                                        ; -- End function
	.section	.AMDGPU.csdata,"",@progbits
; Kernel info:
; codeLenInByte = 992
; NumSgprs: 40
; NumVgprs: 34
; NumAgprs: 0
; TotalNumVgprs: 34
; ScratchSize: 0
; MemoryBound: 0
; FloatMode: 240
; IeeeMode: 1
; LDSByteSize: 456 bytes/workgroup (compile time only)
; SGPRBlocks: 4
; VGPRBlocks: 4
; NumSGPRsForWavesPerEU: 40
; NumVGPRsForWavesPerEU: 34
; AccumOffset: 36
; Occupancy: 8
; WaveLimiterHint : 1
; COMPUTE_PGM_RSRC2:SCRATCH_EN: 0
; COMPUTE_PGM_RSRC2:USER_SGPR: 6
; COMPUTE_PGM_RSRC2:TRAP_HANDLER: 0
; COMPUTE_PGM_RSRC2:TGID_X_EN: 1
; COMPUTE_PGM_RSRC2:TGID_Y_EN: 1
; COMPUTE_PGM_RSRC2:TGID_Z_EN: 0
; COMPUTE_PGM_RSRC2:TIDIG_COMP_CNT: 1
; COMPUTE_PGM_RSRC3_GFX90A:ACCUM_OFFSET: 8
; COMPUTE_PGM_RSRC3_GFX90A:TG_SPLIT: 0
	.section	.text._ZN9rocsparseL29gebsrmm_small_blockdim_kernelILi1ELi4ELi4ELi16EdEEv20rocsparse_direction_20rocsparse_operation_iiNS_24const_host_device_scalarIT3_EEPKiS7_PKS4_iiS9_lS5_PS4_l21rocsparse_index_base_b,"axG",@progbits,_ZN9rocsparseL29gebsrmm_small_blockdim_kernelILi1ELi4ELi4ELi16EdEEv20rocsparse_direction_20rocsparse_operation_iiNS_24const_host_device_scalarIT3_EEPKiS7_PKS4_iiS9_lS5_PS4_l21rocsparse_index_base_b,comdat
	.globl	_ZN9rocsparseL29gebsrmm_small_blockdim_kernelILi1ELi4ELi4ELi16EdEEv20rocsparse_direction_20rocsparse_operation_iiNS_24const_host_device_scalarIT3_EEPKiS7_PKS4_iiS9_lS5_PS4_l21rocsparse_index_base_b ; -- Begin function _ZN9rocsparseL29gebsrmm_small_blockdim_kernelILi1ELi4ELi4ELi16EdEEv20rocsparse_direction_20rocsparse_operation_iiNS_24const_host_device_scalarIT3_EEPKiS7_PKS4_iiS9_lS5_PS4_l21rocsparse_index_base_b
	.p2align	8
	.type	_ZN9rocsparseL29gebsrmm_small_blockdim_kernelILi1ELi4ELi4ELi16EdEEv20rocsparse_direction_20rocsparse_operation_iiNS_24const_host_device_scalarIT3_EEPKiS7_PKS4_iiS9_lS5_PS4_l21rocsparse_index_base_b,@function
_ZN9rocsparseL29gebsrmm_small_blockdim_kernelILi1ELi4ELi4ELi16EdEEv20rocsparse_direction_20rocsparse_operation_iiNS_24const_host_device_scalarIT3_EEPKiS7_PKS4_iiS9_lS5_PS4_l21rocsparse_index_base_b: ; @_ZN9rocsparseL29gebsrmm_small_blockdim_kernelILi1ELi4ELi4ELi16EdEEv20rocsparse_direction_20rocsparse_operation_iiNS_24const_host_device_scalarIT3_EEPKiS7_PKS4_iiS9_lS5_PS4_l21rocsparse_index_base_b
; %bb.0:
	s_load_dwordx2 s[20:21], s[4:5], 0x60
	s_load_dwordx2 s[2:3], s[4:5], 0x10
	s_load_dwordx4 s[8:11], s[4:5], 0x40
	s_waitcnt lgkmcnt(0)
	s_bitcmp1_b32 s21, 0
	s_cselect_b64 s[12:13], -1, 0
	s_xor_b64 s[0:1], s[12:13], -1
	s_and_b64 vcc, exec, s[12:13]
	v_pk_mov_b32 v[4:5], s[2:3], s[2:3] op_sel:[0,1]
	s_cbranch_vccnz .LBB14_2
; %bb.1:
	v_pk_mov_b32 v[2:3], s[2:3], s[2:3] op_sel:[0,1]
	flat_load_dwordx2 v[4:5], v[2:3]
.LBB14_2:
	s_andn2_b64 vcc, exec, s[0:1]
	v_pk_mov_b32 v[2:3], s[10:11], s[10:11] op_sel:[0,1]
	s_cbranch_vccnz .LBB14_4
; %bb.3:
	v_pk_mov_b32 v[2:3], s[10:11], s[10:11] op_sel:[0,1]
	flat_load_dwordx2 v[2:3], v[2:3]
.LBB14_4:
	s_waitcnt vmcnt(0) lgkmcnt(0)
	v_cmp_neq_f64_e32 vcc, 0, v[4:5]
	v_cmp_neq_f64_e64 s[0:1], 1.0, v[2:3]
	s_or_b64 s[0:1], vcc, s[0:1]
	s_and_saveexec_b64 s[2:3], s[0:1]
	s_cbranch_execz .LBB14_23
; %bb.5:
	s_load_dwordx4 s[16:19], s[4:5], 0x4
	s_mov_b32 s24, 0
	s_mov_b32 s21, 0
	s_waitcnt lgkmcnt(0)
	s_cmp_lt_i32 s6, s17
	s_cselect_b64 s[22:23], -1, 0
	s_cmp_ge_i32 s6, s17
	s_cbranch_scc1 .LBB14_7
; %bb.6:
	s_load_dwordx2 s[2:3], s[4:5], 0x18
	s_mov_b32 s0, s7
	s_ashr_i32 s7, s6, 31
	s_lshl_b64 s[10:11], s[6:7], 2
	s_mov_b32 s7, s0
	s_waitcnt lgkmcnt(0)
	s_add_u32 s0, s2, s10
	s_addc_u32 s1, s3, s11
	s_load_dwordx2 s[0:1], s[0:1], 0x0
	s_waitcnt lgkmcnt(0)
	s_sub_i32 s24, s0, s20
	s_sub_i32 s21, s1, s20
.LBB14_7:
	s_load_dwordx2 s[10:11], s[4:5], 0x50
	v_bfe_u32 v8, v0, 10, 10
	v_and_b32_e32 v14, 0x3ff, v0
	v_lshl_add_u32 v0, s7, 4, v8
	v_ashrrev_i32_e32 v1, 31, v0
	v_cmp_gt_i32_e64 s[0:1], s18, v0
	v_cmp_eq_u32_e64 s[2:3], 0, v14
	s_cmp_ge_i32 s24, s21
	v_pk_mov_b32 v[6:7], 0, 0
	s_cbranch_scc1 .LBB14_18
; %bb.8:
	s_load_dwordx4 s[12:15], s[4:5], 0x20
	s_load_dwordx2 s[28:29], s[4:5], 0x38
	v_cmp_gt_u32_e32 vcc, 4, v14
	s_and_b64 s[18:19], vcc, s[0:1]
	v_cmp_gt_u32_e32 vcc, 4, v8
	v_lshlrev_b64 v[6:7], 3, v[0:1]
	s_and_b64 s[26:27], s[2:3], vcc
	s_waitcnt lgkmcnt(0)
	v_mov_b32_e32 v9, s29
	v_add_co_u32_e32 v15, vcc, s28, v6
	v_addc_co_u32_e32 v16, vcc, v9, v7, vcc
	v_mul_lo_u32 v10, v1, s8
	v_mul_lo_u32 v11, v0, s9
	v_mad_u64_u32 v[6:7], s[30:31], v0, s8, 0
	v_add3_u32 v7, v7, v11, v10
	s_cmpk_lg_i32 s16, 0x6f
	v_lshlrev_b64 v[6:7], 3, v[6:7]
	s_cselect_b64 s[16:17], -1, 0
	v_add_co_u32_e32 v6, vcc, s28, v6
	s_ashr_i32 s25, s24, 31
	v_lshlrev_b32_e32 v10, 2, v8
	v_addc_co_u32_e32 v7, vcc, v9, v7, vcc
	v_lshlrev_b32_e32 v9, 3, v14
	s_lshl_b64 s[28:29], s[24:25], 2
	v_add_lshl_u32 v17, v10, v14, 3
	v_add_co_u32_e32 v18, vcc, v6, v9
	s_add_u32 s12, s12, s28
	v_pk_mov_b32 v[10:11], 0, 0
	v_addc_co_u32_e32 v19, vcc, 0, v7, vcc
	v_add_u32_e32 v20, 0x200, v17
	v_add_u32_e32 v21, 0x200, v9
	v_lshlrev_b32_e32 v22, 5, v8
	s_addc_u32 s13, s13, s29
	v_lshl_add_u32 v8, s24, 2, v8
	v_pk_mov_b32 v[6:7], v[10:11], v[10:11] op_sel:[0,1]
	s_branch .LBB14_10
.LBB14_9:                               ;   in Loop: Header=BB14_10 Depth=1
	s_or_b64 exec, exec, s[28:29]
	s_waitcnt lgkmcnt(0)
	; wave barrier
	s_waitcnt lgkmcnt(0)
	ds_read2_b64 v[24:27], v21 offset1:4
	ds_read_b128 v[28:31], v22
	ds_read_b128 v[32:35], v22 offset:16
	ds_read2_b64 v[36:39], v21 offset0:8 offset1:12
	s_add_i32 s24, s24, 1
	s_add_u32 s12, s12, 4
	s_waitcnt lgkmcnt(2)
	v_fmac_f64_e32 v[6:7], v[24:25], v[28:29]
	v_fmac_f64_e32 v[6:7], v[26:27], v[30:31]
	s_waitcnt lgkmcnt(0)
	v_fmac_f64_e32 v[6:7], v[36:37], v[32:33]
	s_addc_u32 s13, s13, 0
	v_fmac_f64_e32 v[6:7], v[38:39], v[34:35]
	s_cmp_ge_i32 s24, s21
	v_add_u32_e32 v8, 4, v8
	s_waitcnt lgkmcnt(0)
	; wave barrier
	s_cbranch_scc1 .LBB14_18
.LBB14_10:                              ; =>This Inner Loop Header: Depth=1
	v_pk_mov_b32 v[12:13], v[10:11], v[10:11] op_sel:[0,1]
	s_and_saveexec_b64 s[28:29], s[18:19]
	s_cbranch_execz .LBB14_16
; %bb.11:                               ;   in Loop: Header=BB14_10 Depth=1
	s_load_dword s7, s[12:13], 0x0
	s_and_b64 vcc, exec, s[16:17]
	s_waitcnt lgkmcnt(0)
	s_sub_i32 s7, s7, s20
	s_lshl_b32 s30, s7, 2
	s_cbranch_vccz .LBB14_13
; %bb.12:                               ;   in Loop: Header=BB14_10 Depth=1
	v_or_b32_e32 v9, s30, v14
	s_ashr_i32 s7, s30, 31
	v_mul_lo_u32 v23, v9, s9
	s_mul_i32 s7, s7, s8
	v_mad_u64_u32 v[12:13], s[34:35], v9, s8, 0
	v_add3_u32 v13, v13, v23, s7
	v_lshlrev_b64 v[12:13], 3, v[12:13]
	v_add_co_u32_e32 v12, vcc, v15, v12
	v_addc_co_u32_e32 v13, vcc, v16, v13, vcc
	s_cbranch_execz .LBB14_14
	s_branch .LBB14_15
.LBB14_13:                              ;   in Loop: Header=BB14_10 Depth=1
                                        ; implicit-def: $vgpr12_vgpr13
.LBB14_14:                              ;   in Loop: Header=BB14_10 Depth=1
	s_ashr_i32 s31, s30, 31
	s_lshl_b64 s[30:31], s[30:31], 3
	v_mov_b32_e32 v9, s31
	v_add_co_u32_e32 v12, vcc, s30, v18
	v_addc_co_u32_e32 v13, vcc, v19, v9, vcc
.LBB14_15:                              ;   in Loop: Header=BB14_10 Depth=1
	global_load_dwordx2 v[12:13], v[12:13], off
.LBB14_16:                              ;   in Loop: Header=BB14_10 Depth=1
	s_or_b64 exec, exec, s[28:29]
	s_waitcnt vmcnt(0)
	ds_write_b64 v17, v[12:13]
	s_and_saveexec_b64 s[28:29], s[26:27]
	s_cbranch_execz .LBB14_9
; %bb.17:                               ;   in Loop: Header=BB14_10 Depth=1
	v_ashrrev_i32_e32 v9, 31, v8
	v_lshlrev_b64 v[12:13], 3, v[8:9]
	v_mov_b32_e32 v9, s15
	v_add_co_u32_e32 v12, vcc, s14, v12
	v_addc_co_u32_e32 v13, vcc, v9, v13, vcc
	global_load_dwordx2 v[12:13], v[12:13], off
	s_waitcnt vmcnt(0)
	ds_write_b64 v20, v[12:13]
	s_branch .LBB14_9
.LBB14_18:
	s_and_b64 s[0:1], s[2:3], s[0:1]
	s_and_b64 s[0:1], s[22:23], s[0:1]
	s_and_b64 exec, exec, s[0:1]
	s_cbranch_execz .LBB14_23
; %bb.19:
	s_load_dwordx2 s[0:1], s[4:5], 0x58
	v_add_u32_e32 v8, s6, v14
	v_cmp_neq_f64_e32 vcc, 0, v[2:3]
	s_waitcnt lgkmcnt(0)
	v_mul_lo_u32 v1, v1, s0
	v_mul_lo_u32 v9, v0, s1
	v_mad_u64_u32 v[10:11], s[0:1], v0, s0, 0
	v_add3_u32 v11, v11, v9, v1
	v_ashrrev_i32_e32 v9, 31, v8
	v_mul_f64 v[0:1], v[4:5], v[6:7]
	v_lshlrev_b64 v[4:5], 3, v[10:11]
	s_and_saveexec_b64 s[0:1], vcc
	s_xor_b64 s[0:1], exec, s[0:1]
	s_cbranch_execz .LBB14_21
; %bb.20:
	v_mov_b32_e32 v6, s11
	v_add_co_u32_e32 v7, vcc, s10, v4
	v_addc_co_u32_e32 v6, vcc, v6, v5, vcc
	v_lshlrev_b64 v[4:5], 3, v[8:9]
	v_add_co_u32_e32 v4, vcc, v7, v4
	v_addc_co_u32_e32 v5, vcc, v6, v5, vcc
	global_load_dwordx2 v[6:7], v[4:5], off
                                        ; implicit-def: $vgpr8
	s_waitcnt vmcnt(0)
	v_fmac_f64_e32 v[0:1], v[2:3], v[6:7]
	global_store_dwordx2 v[4:5], v[0:1], off
                                        ; implicit-def: $vgpr4_vgpr5
                                        ; implicit-def: $vgpr0_vgpr1
.LBB14_21:
	s_andn2_saveexec_b64 s[0:1], s[0:1]
	s_cbranch_execz .LBB14_23
; %bb.22:
	v_mov_b32_e32 v2, s11
	v_add_co_u32_e32 v4, vcc, s10, v4
	v_addc_co_u32_e32 v5, vcc, v2, v5, vcc
	v_lshlrev_b64 v[2:3], 3, v[8:9]
	v_add_co_u32_e32 v2, vcc, v4, v2
	v_addc_co_u32_e32 v3, vcc, v5, v3, vcc
	global_store_dwordx2 v[2:3], v[0:1], off
.LBB14_23:
	s_endpgm
	.section	.rodata,"a",@progbits
	.p2align	6, 0x0
	.amdhsa_kernel _ZN9rocsparseL29gebsrmm_small_blockdim_kernelILi1ELi4ELi4ELi16EdEEv20rocsparse_direction_20rocsparse_operation_iiNS_24const_host_device_scalarIT3_EEPKiS7_PKS4_iiS9_lS5_PS4_l21rocsparse_index_base_b
		.amdhsa_group_segment_fixed_size 640
		.amdhsa_private_segment_fixed_size 0
		.amdhsa_kernarg_size 104
		.amdhsa_user_sgpr_count 6
		.amdhsa_user_sgpr_private_segment_buffer 1
		.amdhsa_user_sgpr_dispatch_ptr 0
		.amdhsa_user_sgpr_queue_ptr 0
		.amdhsa_user_sgpr_kernarg_segment_ptr 1
		.amdhsa_user_sgpr_dispatch_id 0
		.amdhsa_user_sgpr_flat_scratch_init 0
		.amdhsa_user_sgpr_kernarg_preload_length 0
		.amdhsa_user_sgpr_kernarg_preload_offset 0
		.amdhsa_user_sgpr_private_segment_size 0
		.amdhsa_uses_dynamic_stack 0
		.amdhsa_system_sgpr_private_segment_wavefront_offset 0
		.amdhsa_system_sgpr_workgroup_id_x 1
		.amdhsa_system_sgpr_workgroup_id_y 1
		.amdhsa_system_sgpr_workgroup_id_z 0
		.amdhsa_system_sgpr_workgroup_info 0
		.amdhsa_system_vgpr_workitem_id 1
		.amdhsa_next_free_vgpr 40
		.amdhsa_next_free_sgpr 36
		.amdhsa_accum_offset 40
		.amdhsa_reserve_vcc 1
		.amdhsa_reserve_flat_scratch 0
		.amdhsa_float_round_mode_32 0
		.amdhsa_float_round_mode_16_64 0
		.amdhsa_float_denorm_mode_32 3
		.amdhsa_float_denorm_mode_16_64 3
		.amdhsa_dx10_clamp 1
		.amdhsa_ieee_mode 1
		.amdhsa_fp16_overflow 0
		.amdhsa_tg_split 0
		.amdhsa_exception_fp_ieee_invalid_op 0
		.amdhsa_exception_fp_denorm_src 0
		.amdhsa_exception_fp_ieee_div_zero 0
		.amdhsa_exception_fp_ieee_overflow 0
		.amdhsa_exception_fp_ieee_underflow 0
		.amdhsa_exception_fp_ieee_inexact 0
		.amdhsa_exception_int_div_zero 0
	.end_amdhsa_kernel
	.section	.text._ZN9rocsparseL29gebsrmm_small_blockdim_kernelILi1ELi4ELi4ELi16EdEEv20rocsparse_direction_20rocsparse_operation_iiNS_24const_host_device_scalarIT3_EEPKiS7_PKS4_iiS9_lS5_PS4_l21rocsparse_index_base_b,"axG",@progbits,_ZN9rocsparseL29gebsrmm_small_blockdim_kernelILi1ELi4ELi4ELi16EdEEv20rocsparse_direction_20rocsparse_operation_iiNS_24const_host_device_scalarIT3_EEPKiS7_PKS4_iiS9_lS5_PS4_l21rocsparse_index_base_b,comdat
.Lfunc_end14:
	.size	_ZN9rocsparseL29gebsrmm_small_blockdim_kernelILi1ELi4ELi4ELi16EdEEv20rocsparse_direction_20rocsparse_operation_iiNS_24const_host_device_scalarIT3_EEPKiS7_PKS4_iiS9_lS5_PS4_l21rocsparse_index_base_b, .Lfunc_end14-_ZN9rocsparseL29gebsrmm_small_blockdim_kernelILi1ELi4ELi4ELi16EdEEv20rocsparse_direction_20rocsparse_operation_iiNS_24const_host_device_scalarIT3_EEPKiS7_PKS4_iiS9_lS5_PS4_l21rocsparse_index_base_b
                                        ; -- End function
	.section	.AMDGPU.csdata,"",@progbits
; Kernel info:
; codeLenInByte = 992
; NumSgprs: 40
; NumVgprs: 40
; NumAgprs: 0
; TotalNumVgprs: 40
; ScratchSize: 0
; MemoryBound: 0
; FloatMode: 240
; IeeeMode: 1
; LDSByteSize: 640 bytes/workgroup (compile time only)
; SGPRBlocks: 4
; VGPRBlocks: 4
; NumSGPRsForWavesPerEU: 40
; NumVGPRsForWavesPerEU: 40
; AccumOffset: 40
; Occupancy: 8
; WaveLimiterHint : 1
; COMPUTE_PGM_RSRC2:SCRATCH_EN: 0
; COMPUTE_PGM_RSRC2:USER_SGPR: 6
; COMPUTE_PGM_RSRC2:TRAP_HANDLER: 0
; COMPUTE_PGM_RSRC2:TGID_X_EN: 1
; COMPUTE_PGM_RSRC2:TGID_Y_EN: 1
; COMPUTE_PGM_RSRC2:TGID_Z_EN: 0
; COMPUTE_PGM_RSRC2:TIDIG_COMP_CNT: 1
; COMPUTE_PGM_RSRC3_GFX90A:ACCUM_OFFSET: 9
; COMPUTE_PGM_RSRC3_GFX90A:TG_SPLIT: 0
	.section	.text._ZN9rocsparseL29gebsrmm_small_blockdim_kernelILi2ELi1ELi2ELi16EdEEv20rocsparse_direction_20rocsparse_operation_iiNS_24const_host_device_scalarIT3_EEPKiS7_PKS4_iiS9_lS5_PS4_l21rocsparse_index_base_b,"axG",@progbits,_ZN9rocsparseL29gebsrmm_small_blockdim_kernelILi2ELi1ELi2ELi16EdEEv20rocsparse_direction_20rocsparse_operation_iiNS_24const_host_device_scalarIT3_EEPKiS7_PKS4_iiS9_lS5_PS4_l21rocsparse_index_base_b,comdat
	.globl	_ZN9rocsparseL29gebsrmm_small_blockdim_kernelILi2ELi1ELi2ELi16EdEEv20rocsparse_direction_20rocsparse_operation_iiNS_24const_host_device_scalarIT3_EEPKiS7_PKS4_iiS9_lS5_PS4_l21rocsparse_index_base_b ; -- Begin function _ZN9rocsparseL29gebsrmm_small_blockdim_kernelILi2ELi1ELi2ELi16EdEEv20rocsparse_direction_20rocsparse_operation_iiNS_24const_host_device_scalarIT3_EEPKiS7_PKS4_iiS9_lS5_PS4_l21rocsparse_index_base_b
	.p2align	8
	.type	_ZN9rocsparseL29gebsrmm_small_blockdim_kernelILi2ELi1ELi2ELi16EdEEv20rocsparse_direction_20rocsparse_operation_iiNS_24const_host_device_scalarIT3_EEPKiS7_PKS4_iiS9_lS5_PS4_l21rocsparse_index_base_b,@function
_ZN9rocsparseL29gebsrmm_small_blockdim_kernelILi2ELi1ELi2ELi16EdEEv20rocsparse_direction_20rocsparse_operation_iiNS_24const_host_device_scalarIT3_EEPKiS7_PKS4_iiS9_lS5_PS4_l21rocsparse_index_base_b: ; @_ZN9rocsparseL29gebsrmm_small_blockdim_kernelILi2ELi1ELi2ELi16EdEEv20rocsparse_direction_20rocsparse_operation_iiNS_24const_host_device_scalarIT3_EEPKiS7_PKS4_iiS9_lS5_PS4_l21rocsparse_index_base_b
; %bb.0:
	s_load_dwordx2 s[20:21], s[4:5], 0x60
	s_load_dwordx2 s[2:3], s[4:5], 0x10
	s_load_dwordx4 s[8:11], s[4:5], 0x40
	s_waitcnt lgkmcnt(0)
	s_bitcmp1_b32 s21, 0
	s_cselect_b64 s[12:13], -1, 0
	s_xor_b64 s[0:1], s[12:13], -1
	s_and_b64 vcc, exec, s[12:13]
	v_pk_mov_b32 v[4:5], s[2:3], s[2:3] op_sel:[0,1]
	s_cbranch_vccnz .LBB15_2
; %bb.1:
	v_pk_mov_b32 v[2:3], s[2:3], s[2:3] op_sel:[0,1]
	flat_load_dwordx2 v[4:5], v[2:3]
.LBB15_2:
	s_andn2_b64 vcc, exec, s[0:1]
	v_pk_mov_b32 v[2:3], s[10:11], s[10:11] op_sel:[0,1]
	s_cbranch_vccnz .LBB15_4
; %bb.3:
	v_pk_mov_b32 v[2:3], s[10:11], s[10:11] op_sel:[0,1]
	flat_load_dwordx2 v[2:3], v[2:3]
.LBB15_4:
	s_waitcnt vmcnt(0) lgkmcnt(0)
	v_cmp_neq_f64_e32 vcc, 0, v[4:5]
	v_cmp_neq_f64_e64 s[0:1], 1.0, v[2:3]
	s_or_b64 s[0:1], vcc, s[0:1]
	s_and_saveexec_b64 s[2:3], s[0:1]
	s_cbranch_execz .LBB15_23
; %bb.5:
	s_load_dwordx4 s[16:19], s[4:5], 0x4
	s_mov_b32 s24, 0
	s_mov_b32 s21, 0
	s_waitcnt lgkmcnt(0)
	s_cmp_lt_i32 s6, s17
	s_cselect_b64 s[22:23], -1, 0
	s_cmp_ge_i32 s6, s17
	s_cbranch_scc1 .LBB15_7
; %bb.6:
	s_load_dwordx2 s[2:3], s[4:5], 0x18
	s_mov_b32 s0, s7
	s_ashr_i32 s7, s6, 31
	s_lshl_b64 s[10:11], s[6:7], 2
	s_mov_b32 s7, s0
	s_waitcnt lgkmcnt(0)
	s_add_u32 s0, s2, s10
	s_addc_u32 s1, s3, s11
	s_load_dwordx2 s[0:1], s[0:1], 0x0
	s_waitcnt lgkmcnt(0)
	s_sub_i32 s24, s0, s20
	s_sub_i32 s21, s1, s20
.LBB15_7:
	s_load_dwordx2 s[10:11], s[4:5], 0x50
	v_bfe_u32 v8, v0, 10, 10
	v_and_b32_e32 v14, 0x3ff, v0
	v_lshl_add_u32 v0, s7, 4, v8
	v_ashrrev_i32_e32 v1, 31, v0
	v_cmp_gt_i32_e64 s[0:1], s18, v0
	v_cmp_gt_u32_e64 s[2:3], 2, v14
	s_cmp_ge_i32 s24, s21
	v_pk_mov_b32 v[6:7], 0, 0
	s_cbranch_scc1 .LBB15_18
; %bb.8:
	s_load_dwordx4 s[12:15], s[4:5], 0x20
	s_load_dwordx2 s[28:29], s[4:5], 0x38
	v_cmp_eq_u32_e32 vcc, 0, v14
	s_and_b64 s[18:19], vcc, s[0:1]
	v_cmp_eq_u32_e32 vcc, 0, v8
	v_lshlrev_b64 v[6:7], 3, v[0:1]
	s_and_b64 s[26:27], s[2:3], vcc
	s_waitcnt lgkmcnt(0)
	v_mov_b32_e32 v9, s29
	v_add_co_u32_e32 v15, vcc, s28, v6
	v_addc_co_u32_e32 v16, vcc, v9, v7, vcc
	v_mul_lo_u32 v10, v1, s8
	v_mul_lo_u32 v11, v0, s9
	v_mad_u64_u32 v[6:7], s[30:31], v0, s8, 0
	v_add3_u32 v7, v7, v11, v10
	s_cmpk_lg_i32 s16, 0x6f
	s_cselect_b64 s[16:17], -1, 0
	v_lshlrev_b64 v[6:7], 3, v[6:7]
	s_ashr_i32 s25, s24, 31
	v_lshlrev_b32_e32 v10, 1, v8
	v_add_co_u32_e32 v18, vcc, s28, v6
	s_lshl_b64 s[28:29], s[24:25], 2
	v_add_lshl_u32 v17, v10, v14, 3
	v_mov_b32_e32 v6, 0x100
	s_add_u32 s12, s12, s28
	v_pk_mov_b32 v[10:11], 0, 0
	v_addc_co_u32_e32 v19, vcc, v9, v7, vcc
	v_add_u32_e32 v20, 0x100, v17
	v_lshl_add_u32 v21, v14, 3, v6
	v_lshlrev_b32_e32 v22, 4, v8
	s_addc_u32 s13, s13, s29
	v_lshl_add_u32 v8, s24, 1, v14
	v_pk_mov_b32 v[6:7], v[10:11], v[10:11] op_sel:[0,1]
	s_branch .LBB15_10
.LBB15_9:                               ;   in Loop: Header=BB15_10 Depth=1
	s_or_b64 exec, exec, s[28:29]
	s_waitcnt lgkmcnt(0)
	; wave barrier
	s_waitcnt lgkmcnt(0)
	ds_read_b64 v[12:13], v21
	ds_read_b64 v[24:25], v22
	s_add_i32 s24, s24, 1
	s_add_u32 s12, s12, 4
	s_addc_u32 s13, s13, 0
	s_cmp_ge_i32 s24, s21
	s_waitcnt lgkmcnt(0)
	v_fmac_f64_e32 v[6:7], v[12:13], v[24:25]
	v_add_u32_e32 v8, 2, v8
	s_waitcnt lgkmcnt(0)
	; wave barrier
	s_cbranch_scc1 .LBB15_18
.LBB15_10:                              ; =>This Inner Loop Header: Depth=1
	v_pk_mov_b32 v[12:13], v[10:11], v[10:11] op_sel:[0,1]
	s_and_saveexec_b64 s[28:29], s[18:19]
	s_cbranch_execz .LBB15_16
; %bb.11:                               ;   in Loop: Header=BB15_10 Depth=1
	s_load_dword s7, s[12:13], 0x0
	s_and_b64 vcc, exec, s[16:17]
	s_waitcnt lgkmcnt(0)
	s_sub_i32 s30, s7, s20
	s_ashr_i32 s31, s30, 31
	s_cbranch_vccz .LBB15_13
; %bb.12:                               ;   in Loop: Header=BB15_10 Depth=1
	s_mul_i32 s7, s30, s9
	s_mul_hi_u32 s25, s30, s8
	s_add_i32 s7, s25, s7
	s_mul_i32 s25, s31, s8
	s_add_i32 s35, s7, s25
	s_mul_i32 s34, s30, s8
	s_lshl_b64 s[34:35], s[34:35], 3
	v_mov_b32_e32 v9, s35
	v_add_co_u32_e32 v12, vcc, s34, v15
	v_addc_co_u32_e32 v13, vcc, v16, v9, vcc
	s_cbranch_execz .LBB15_14
	s_branch .LBB15_15
.LBB15_13:                              ;   in Loop: Header=BB15_10 Depth=1
                                        ; implicit-def: $vgpr12_vgpr13
.LBB15_14:                              ;   in Loop: Header=BB15_10 Depth=1
	s_lshl_b64 s[30:31], s[30:31], 3
	v_mov_b32_e32 v9, s31
	v_add_co_u32_e32 v12, vcc, s30, v18
	v_addc_co_u32_e32 v13, vcc, v19, v9, vcc
.LBB15_15:                              ;   in Loop: Header=BB15_10 Depth=1
	global_load_dwordx2 v[12:13], v[12:13], off
.LBB15_16:                              ;   in Loop: Header=BB15_10 Depth=1
	s_or_b64 exec, exec, s[28:29]
	s_waitcnt vmcnt(0)
	ds_write_b64 v17, v[12:13]
	s_and_saveexec_b64 s[28:29], s[26:27]
	s_cbranch_execz .LBB15_9
; %bb.17:                               ;   in Loop: Header=BB15_10 Depth=1
	v_ashrrev_i32_e32 v9, 31, v8
	v_lshlrev_b64 v[12:13], 3, v[8:9]
	v_mov_b32_e32 v9, s15
	v_add_co_u32_e32 v12, vcc, s14, v12
	v_addc_co_u32_e32 v13, vcc, v9, v13, vcc
	global_load_dwordx2 v[12:13], v[12:13], off
	s_waitcnt vmcnt(0)
	ds_write_b64 v20, v[12:13]
	s_branch .LBB15_9
.LBB15_18:
	s_and_b64 s[0:1], s[2:3], s[0:1]
	s_and_b64 s[0:1], s[22:23], s[0:1]
	s_and_b64 exec, exec, s[0:1]
	s_cbranch_execz .LBB15_23
; %bb.19:
	s_load_dwordx2 s[0:1], s[4:5], 0x58
	v_lshl_add_u32 v8, s6, 1, v14
	v_cmp_neq_f64_e32 vcc, 0, v[2:3]
	s_waitcnt lgkmcnt(0)
	v_mul_lo_u32 v1, v1, s0
	v_mul_lo_u32 v9, v0, s1
	v_mad_u64_u32 v[10:11], s[0:1], v0, s0, 0
	v_add3_u32 v11, v11, v9, v1
	v_ashrrev_i32_e32 v9, 31, v8
	v_mul_f64 v[0:1], v[4:5], v[6:7]
	v_lshlrev_b64 v[4:5], 3, v[10:11]
	s_and_saveexec_b64 s[0:1], vcc
	s_xor_b64 s[0:1], exec, s[0:1]
	s_cbranch_execz .LBB15_21
; %bb.20:
	v_mov_b32_e32 v6, s11
	v_add_co_u32_e32 v7, vcc, s10, v4
	v_addc_co_u32_e32 v6, vcc, v6, v5, vcc
	v_lshlrev_b64 v[4:5], 3, v[8:9]
	v_add_co_u32_e32 v4, vcc, v7, v4
	v_addc_co_u32_e32 v5, vcc, v6, v5, vcc
	global_load_dwordx2 v[6:7], v[4:5], off
                                        ; implicit-def: $vgpr8
	s_waitcnt vmcnt(0)
	v_fmac_f64_e32 v[0:1], v[2:3], v[6:7]
	global_store_dwordx2 v[4:5], v[0:1], off
                                        ; implicit-def: $vgpr4_vgpr5
                                        ; implicit-def: $vgpr0_vgpr1
.LBB15_21:
	s_andn2_saveexec_b64 s[0:1], s[0:1]
	s_cbranch_execz .LBB15_23
; %bb.22:
	v_mov_b32_e32 v2, s11
	v_add_co_u32_e32 v4, vcc, s10, v4
	v_addc_co_u32_e32 v5, vcc, v2, v5, vcc
	v_lshlrev_b64 v[2:3], 3, v[8:9]
	v_add_co_u32_e32 v2, vcc, v4, v2
	v_addc_co_u32_e32 v3, vcc, v5, v3, vcc
	global_store_dwordx2 v[2:3], v[0:1], off
.LBB15_23:
	s_endpgm
	.section	.rodata,"a",@progbits
	.p2align	6, 0x0
	.amdhsa_kernel _ZN9rocsparseL29gebsrmm_small_blockdim_kernelILi2ELi1ELi2ELi16EdEEv20rocsparse_direction_20rocsparse_operation_iiNS_24const_host_device_scalarIT3_EEPKiS7_PKS4_iiS9_lS5_PS4_l21rocsparse_index_base_b
		.amdhsa_group_segment_fixed_size 288
		.amdhsa_private_segment_fixed_size 0
		.amdhsa_kernarg_size 104
		.amdhsa_user_sgpr_count 6
		.amdhsa_user_sgpr_private_segment_buffer 1
		.amdhsa_user_sgpr_dispatch_ptr 0
		.amdhsa_user_sgpr_queue_ptr 0
		.amdhsa_user_sgpr_kernarg_segment_ptr 1
		.amdhsa_user_sgpr_dispatch_id 0
		.amdhsa_user_sgpr_flat_scratch_init 0
		.amdhsa_user_sgpr_kernarg_preload_length 0
		.amdhsa_user_sgpr_kernarg_preload_offset 0
		.amdhsa_user_sgpr_private_segment_size 0
		.amdhsa_uses_dynamic_stack 0
		.amdhsa_system_sgpr_private_segment_wavefront_offset 0
		.amdhsa_system_sgpr_workgroup_id_x 1
		.amdhsa_system_sgpr_workgroup_id_y 1
		.amdhsa_system_sgpr_workgroup_id_z 0
		.amdhsa_system_sgpr_workgroup_info 0
		.amdhsa_system_vgpr_workitem_id 1
		.amdhsa_next_free_vgpr 26
		.amdhsa_next_free_sgpr 36
		.amdhsa_accum_offset 28
		.amdhsa_reserve_vcc 1
		.amdhsa_reserve_flat_scratch 0
		.amdhsa_float_round_mode_32 0
		.amdhsa_float_round_mode_16_64 0
		.amdhsa_float_denorm_mode_32 3
		.amdhsa_float_denorm_mode_16_64 3
		.amdhsa_dx10_clamp 1
		.amdhsa_ieee_mode 1
		.amdhsa_fp16_overflow 0
		.amdhsa_tg_split 0
		.amdhsa_exception_fp_ieee_invalid_op 0
		.amdhsa_exception_fp_denorm_src 0
		.amdhsa_exception_fp_ieee_div_zero 0
		.amdhsa_exception_fp_ieee_overflow 0
		.amdhsa_exception_fp_ieee_underflow 0
		.amdhsa_exception_fp_ieee_inexact 0
		.amdhsa_exception_int_div_zero 0
	.end_amdhsa_kernel
	.section	.text._ZN9rocsparseL29gebsrmm_small_blockdim_kernelILi2ELi1ELi2ELi16EdEEv20rocsparse_direction_20rocsparse_operation_iiNS_24const_host_device_scalarIT3_EEPKiS7_PKS4_iiS9_lS5_PS4_l21rocsparse_index_base_b,"axG",@progbits,_ZN9rocsparseL29gebsrmm_small_blockdim_kernelILi2ELi1ELi2ELi16EdEEv20rocsparse_direction_20rocsparse_operation_iiNS_24const_host_device_scalarIT3_EEPKiS7_PKS4_iiS9_lS5_PS4_l21rocsparse_index_base_b,comdat
.Lfunc_end15:
	.size	_ZN9rocsparseL29gebsrmm_small_blockdim_kernelILi2ELi1ELi2ELi16EdEEv20rocsparse_direction_20rocsparse_operation_iiNS_24const_host_device_scalarIT3_EEPKiS7_PKS4_iiS9_lS5_PS4_l21rocsparse_index_base_b, .Lfunc_end15-_ZN9rocsparseL29gebsrmm_small_blockdim_kernelILi2ELi1ELi2ELi16EdEEv20rocsparse_direction_20rocsparse_operation_iiNS_24const_host_device_scalarIT3_EEPKiS7_PKS4_iiS9_lS5_PS4_l21rocsparse_index_base_b
                                        ; -- End function
	.section	.AMDGPU.csdata,"",@progbits
; Kernel info:
; codeLenInByte = 944
; NumSgprs: 40
; NumVgprs: 26
; NumAgprs: 0
; TotalNumVgprs: 26
; ScratchSize: 0
; MemoryBound: 0
; FloatMode: 240
; IeeeMode: 1
; LDSByteSize: 288 bytes/workgroup (compile time only)
; SGPRBlocks: 4
; VGPRBlocks: 3
; NumSGPRsForWavesPerEU: 40
; NumVGPRsForWavesPerEU: 26
; AccumOffset: 28
; Occupancy: 8
; WaveLimiterHint : 1
; COMPUTE_PGM_RSRC2:SCRATCH_EN: 0
; COMPUTE_PGM_RSRC2:USER_SGPR: 6
; COMPUTE_PGM_RSRC2:TRAP_HANDLER: 0
; COMPUTE_PGM_RSRC2:TGID_X_EN: 1
; COMPUTE_PGM_RSRC2:TGID_Y_EN: 1
; COMPUTE_PGM_RSRC2:TGID_Z_EN: 0
; COMPUTE_PGM_RSRC2:TIDIG_COMP_CNT: 1
; COMPUTE_PGM_RSRC3_GFX90A:ACCUM_OFFSET: 6
; COMPUTE_PGM_RSRC3_GFX90A:TG_SPLIT: 0
	.section	.text._ZN9rocsparseL29gebsrmm_small_blockdim_kernelILi2ELi3ELi3ELi16EdEEv20rocsparse_direction_20rocsparse_operation_iiNS_24const_host_device_scalarIT3_EEPKiS7_PKS4_iiS9_lS5_PS4_l21rocsparse_index_base_b,"axG",@progbits,_ZN9rocsparseL29gebsrmm_small_blockdim_kernelILi2ELi3ELi3ELi16EdEEv20rocsparse_direction_20rocsparse_operation_iiNS_24const_host_device_scalarIT3_EEPKiS7_PKS4_iiS9_lS5_PS4_l21rocsparse_index_base_b,comdat
	.globl	_ZN9rocsparseL29gebsrmm_small_blockdim_kernelILi2ELi3ELi3ELi16EdEEv20rocsparse_direction_20rocsparse_operation_iiNS_24const_host_device_scalarIT3_EEPKiS7_PKS4_iiS9_lS5_PS4_l21rocsparse_index_base_b ; -- Begin function _ZN9rocsparseL29gebsrmm_small_blockdim_kernelILi2ELi3ELi3ELi16EdEEv20rocsparse_direction_20rocsparse_operation_iiNS_24const_host_device_scalarIT3_EEPKiS7_PKS4_iiS9_lS5_PS4_l21rocsparse_index_base_b
	.p2align	8
	.type	_ZN9rocsparseL29gebsrmm_small_blockdim_kernelILi2ELi3ELi3ELi16EdEEv20rocsparse_direction_20rocsparse_operation_iiNS_24const_host_device_scalarIT3_EEPKiS7_PKS4_iiS9_lS5_PS4_l21rocsparse_index_base_b,@function
_ZN9rocsparseL29gebsrmm_small_blockdim_kernelILi2ELi3ELi3ELi16EdEEv20rocsparse_direction_20rocsparse_operation_iiNS_24const_host_device_scalarIT3_EEPKiS7_PKS4_iiS9_lS5_PS4_l21rocsparse_index_base_b: ; @_ZN9rocsparseL29gebsrmm_small_blockdim_kernelILi2ELi3ELi3ELi16EdEEv20rocsparse_direction_20rocsparse_operation_iiNS_24const_host_device_scalarIT3_EEPKiS7_PKS4_iiS9_lS5_PS4_l21rocsparse_index_base_b
; %bb.0:
	s_load_dwordx2 s[20:21], s[4:5], 0x60
	s_load_dwordx2 s[2:3], s[4:5], 0x10
	s_load_dwordx4 s[12:15], s[4:5], 0x40
	s_waitcnt lgkmcnt(0)
	s_bitcmp1_b32 s21, 0
	s_cselect_b64 s[8:9], -1, 0
	s_xor_b64 s[0:1], s[8:9], -1
	s_and_b64 vcc, exec, s[8:9]
	v_pk_mov_b32 v[4:5], s[2:3], s[2:3] op_sel:[0,1]
	s_cbranch_vccnz .LBB16_2
; %bb.1:
	v_pk_mov_b32 v[2:3], s[2:3], s[2:3] op_sel:[0,1]
	flat_load_dwordx2 v[4:5], v[2:3]
.LBB16_2:
	s_andn2_b64 vcc, exec, s[0:1]
	v_pk_mov_b32 v[2:3], s[14:15], s[14:15] op_sel:[0,1]
	s_cbranch_vccnz .LBB16_4
; %bb.3:
	v_pk_mov_b32 v[2:3], s[14:15], s[14:15] op_sel:[0,1]
	flat_load_dwordx2 v[2:3], v[2:3]
.LBB16_4:
	s_waitcnt vmcnt(0) lgkmcnt(0)
	v_cmp_neq_f64_e32 vcc, 0, v[4:5]
	v_cmp_neq_f64_e64 s[0:1], 1.0, v[2:3]
	s_or_b64 s[0:1], vcc, s[0:1]
	s_and_saveexec_b64 s[2:3], s[0:1]
	s_cbranch_execz .LBB16_23
; %bb.5:
	s_load_dwordx4 s[8:11], s[4:5], 0x0
	s_mov_b32 s24, 0
	s_mov_b32 s21, 0
	s_waitcnt lgkmcnt(0)
	s_cmp_lt_i32 s6, s10
	s_cselect_b64 s[22:23], -1, 0
	s_cmp_ge_i32 s6, s10
	s_cbranch_scc1 .LBB16_7
; %bb.6:
	s_load_dwordx2 s[2:3], s[4:5], 0x18
	s_mov_b32 s0, s7
	s_ashr_i32 s7, s6, 31
	s_lshl_b64 s[14:15], s[6:7], 2
	s_mov_b32 s7, s0
	s_waitcnt lgkmcnt(0)
	s_add_u32 s0, s2, s14
	s_addc_u32 s1, s3, s15
	s_load_dwordx2 s[0:1], s[0:1], 0x0
	s_waitcnt lgkmcnt(0)
	s_sub_i32 s24, s0, s20
	s_sub_i32 s21, s1, s20
.LBB16_7:
	s_load_dwordx2 s[14:15], s[4:5], 0x50
	v_bfe_u32 v8, v0, 10, 10
	v_and_b32_e32 v12, 0x3ff, v0
	v_lshl_add_u32 v0, s7, 4, v8
	v_ashrrev_i32_e32 v1, 31, v0
	v_cmp_gt_i32_e64 s[0:1], s11, v0
	v_cmp_gt_u32_e64 s[2:3], 2, v12
	s_cmp_ge_i32 s24, s21
	v_pk_mov_b32 v[6:7], 0, 0
	s_cbranch_scc1 .LBB16_18
; %bb.8:
	s_load_dwordx4 s[16:19], s[4:5], 0x20
	s_load_dwordx2 s[30:31], s[4:5], 0x38
	v_cmp_gt_u32_e32 vcc, 3, v12
	s_and_b64 s[10:11], vcc, s[0:1]
	v_cmp_gt_u32_e32 vcc, 3, v8
	v_lshlrev_b64 v[6:7], 3, v[0:1]
	s_and_b64 s[26:27], s[2:3], vcc
	s_waitcnt lgkmcnt(0)
	v_mov_b32_e32 v9, s31
	v_add_co_u32_e32 v13, vcc, s30, v6
	v_addc_co_u32_e32 v14, vcc, v9, v7, vcc
	v_mul_lo_u32 v10, v1, s12
	v_mul_lo_u32 v11, v0, s13
	v_mad_u64_u32 v[6:7], s[28:29], v0, s12, 0
	v_add3_u32 v7, v7, v11, v10
	v_lshlrev_b64 v[6:7], 3, v[6:7]
	s_cmpk_lg_i32 s9, 0x6f
	v_add_co_u32_e32 v6, vcc, s30, v6
	s_cselect_b64 s[28:29], -1, 0
	v_addc_co_u32_e32 v7, vcc, v9, v7, vcc
	v_lshlrev_b32_e32 v9, 3, v12
	s_cmp_eq_u32 s8, 0
	v_add_co_u32_e32 v16, vcc, v6, v9
	s_cselect_b64 s[8:9], -1, 0
	s_ashr_i32 s25, s24, 31
	v_mul_u32_u24_e32 v10, 3, v8
	v_addc_co_u32_e32 v17, vcc, 0, v7, vcc
	v_mul_u32_u24_e32 v7, 3, v12
	s_lshl_b64 s[30:31], s[24:25], 2
	s_mul_i32 s7, s24, 6
	v_add_lshl_u32 v15, v10, v12, 3
	v_lshlrev_b32_e32 v6, 1, v8
	v_add_u32_e32 v19, 0x180, v9
	s_add_u32 s16, s16, s30
	v_add3_u32 v22, v7, v8, s7
	v_pk_mov_b32 v[8:9], 0, 0
	v_add_u32_e32 v18, 0x180, v15
	v_lshlrev_b32_e32 v20, 3, v10
	s_addc_u32 s17, s17, s31
	v_add3_u32 v21, v12, s7, v6
	v_pk_mov_b32 v[6:7], v[8:9], v[8:9] op_sel:[0,1]
	s_branch .LBB16_10
.LBB16_9:                               ;   in Loop: Header=BB16_10 Depth=1
	s_or_b64 exec, exec, s[30:31]
	s_waitcnt lgkmcnt(0)
	; wave barrier
	s_waitcnt lgkmcnt(0)
	ds_read2_b64 v[24:27], v19 offset1:3
	ds_read2_b64 v[28:31], v20 offset1:1
	ds_read_b64 v[10:11], v19 offset:48
	ds_read_b64 v[32:33], v20 offset:16
	s_add_i32 s24, s24, 1
	s_add_u32 s16, s16, 4
	s_waitcnt lgkmcnt(2)
	v_fmac_f64_e32 v[6:7], v[24:25], v[28:29]
	v_fmac_f64_e32 v[6:7], v[26:27], v[30:31]
	s_addc_u32 s17, s17, 0
	s_waitcnt lgkmcnt(0)
	v_fmac_f64_e32 v[6:7], v[10:11], v[32:33]
	v_add_u32_e32 v21, 6, v21
	s_cmp_ge_i32 s24, s21
	v_add_u32_e32 v22, 6, v22
	s_waitcnt lgkmcnt(0)
	; wave barrier
	s_cbranch_scc1 .LBB16_18
.LBB16_10:                              ; =>This Inner Loop Header: Depth=1
	v_pk_mov_b32 v[10:11], v[8:9], v[8:9] op_sel:[0,1]
	s_and_saveexec_b64 s[30:31], s[10:11]
	s_cbranch_execz .LBB16_16
; %bb.11:                               ;   in Loop: Header=BB16_10 Depth=1
	s_load_dword s7, s[16:17], 0x0
	s_and_b64 vcc, exec, s[28:29]
	s_waitcnt lgkmcnt(0)
	s_sub_i32 s7, s7, s20
	s_mul_i32 s34, s7, 3
	s_cbranch_vccz .LBB16_13
; %bb.12:                               ;   in Loop: Header=BB16_10 Depth=1
	v_add_u32_e32 v10, s34, v12
	v_ashrrev_i32_e32 v11, 31, v10
	v_mul_lo_u32 v23, v11, s12
	v_mul_lo_u32 v24, v10, s13
	v_mad_u64_u32 v[10:11], s[36:37], v10, s12, 0
	v_add3_u32 v11, v11, v24, v23
	v_lshlrev_b64 v[10:11], 3, v[10:11]
	v_add_co_u32_e32 v10, vcc, v13, v10
	v_addc_co_u32_e32 v11, vcc, v14, v11, vcc
	s_cbranch_execz .LBB16_14
	s_branch .LBB16_15
.LBB16_13:                              ;   in Loop: Header=BB16_10 Depth=1
                                        ; implicit-def: $vgpr10_vgpr11
.LBB16_14:                              ;   in Loop: Header=BB16_10 Depth=1
	s_ashr_i32 s35, s34, 31
	s_lshl_b64 s[34:35], s[34:35], 3
	v_mov_b32_e32 v11, s35
	v_add_co_u32_e32 v10, vcc, s34, v16
	v_addc_co_u32_e32 v11, vcc, v17, v11, vcc
.LBB16_15:                              ;   in Loop: Header=BB16_10 Depth=1
	global_load_dwordx2 v[10:11], v[10:11], off
.LBB16_16:                              ;   in Loop: Header=BB16_10 Depth=1
	s_or_b64 exec, exec, s[30:31]
	s_waitcnt vmcnt(0)
	ds_write_b64 v15, v[10:11]
	s_and_saveexec_b64 s[30:31], s[26:27]
	s_cbranch_execz .LBB16_9
; %bb.17:                               ;   in Loop: Header=BB16_10 Depth=1
	v_cndmask_b32_e64 v10, v21, v22, s[8:9]
	v_ashrrev_i32_e32 v11, 31, v10
	v_lshlrev_b64 v[10:11], 3, v[10:11]
	v_mov_b32_e32 v23, s19
	v_add_co_u32_e32 v10, vcc, s18, v10
	v_addc_co_u32_e32 v11, vcc, v23, v11, vcc
	global_load_dwordx2 v[10:11], v[10:11], off
	s_waitcnt vmcnt(0)
	ds_write_b64 v18, v[10:11]
	s_branch .LBB16_9
.LBB16_18:
	s_and_b64 s[0:1], s[2:3], s[0:1]
	s_and_b64 s[0:1], s[22:23], s[0:1]
	s_and_b64 exec, exec, s[0:1]
	s_cbranch_execz .LBB16_23
; %bb.19:
	s_load_dwordx2 s[0:1], s[4:5], 0x58
	v_lshl_add_u32 v8, s6, 1, v12
	v_cmp_neq_f64_e32 vcc, 0, v[2:3]
	s_waitcnt lgkmcnt(0)
	v_mul_lo_u32 v1, v1, s0
	v_mul_lo_u32 v9, v0, s1
	v_mad_u64_u32 v[10:11], s[0:1], v0, s0, 0
	v_add3_u32 v11, v11, v9, v1
	v_ashrrev_i32_e32 v9, 31, v8
	v_mul_f64 v[0:1], v[4:5], v[6:7]
	v_lshlrev_b64 v[4:5], 3, v[10:11]
	s_and_saveexec_b64 s[0:1], vcc
	s_xor_b64 s[0:1], exec, s[0:1]
	s_cbranch_execz .LBB16_21
; %bb.20:
	v_mov_b32_e32 v6, s15
	v_add_co_u32_e32 v7, vcc, s14, v4
	v_addc_co_u32_e32 v6, vcc, v6, v5, vcc
	v_lshlrev_b64 v[4:5], 3, v[8:9]
	v_add_co_u32_e32 v4, vcc, v7, v4
	v_addc_co_u32_e32 v5, vcc, v6, v5, vcc
	global_load_dwordx2 v[6:7], v[4:5], off
                                        ; implicit-def: $vgpr8
	s_waitcnt vmcnt(0)
	v_fmac_f64_e32 v[0:1], v[2:3], v[6:7]
	global_store_dwordx2 v[4:5], v[0:1], off
                                        ; implicit-def: $vgpr4_vgpr5
                                        ; implicit-def: $vgpr0_vgpr1
.LBB16_21:
	s_andn2_saveexec_b64 s[0:1], s[0:1]
	s_cbranch_execz .LBB16_23
; %bb.22:
	v_mov_b32_e32 v2, s15
	v_add_co_u32_e32 v4, vcc, s14, v4
	v_addc_co_u32_e32 v5, vcc, v2, v5, vcc
	v_lshlrev_b64 v[2:3], 3, v[8:9]
	v_add_co_u32_e32 v2, vcc, v4, v2
	v_addc_co_u32_e32 v3, vcc, v5, v3, vcc
	global_store_dwordx2 v[2:3], v[0:1], off
.LBB16_23:
	s_endpgm
	.section	.rodata,"a",@progbits
	.p2align	6, 0x0
	.amdhsa_kernel _ZN9rocsparseL29gebsrmm_small_blockdim_kernelILi2ELi3ELi3ELi16EdEEv20rocsparse_direction_20rocsparse_operation_iiNS_24const_host_device_scalarIT3_EEPKiS7_PKS4_iiS9_lS5_PS4_l21rocsparse_index_base_b
		.amdhsa_group_segment_fixed_size 456
		.amdhsa_private_segment_fixed_size 0
		.amdhsa_kernarg_size 104
		.amdhsa_user_sgpr_count 6
		.amdhsa_user_sgpr_private_segment_buffer 1
		.amdhsa_user_sgpr_dispatch_ptr 0
		.amdhsa_user_sgpr_queue_ptr 0
		.amdhsa_user_sgpr_kernarg_segment_ptr 1
		.amdhsa_user_sgpr_dispatch_id 0
		.amdhsa_user_sgpr_flat_scratch_init 0
		.amdhsa_user_sgpr_kernarg_preload_length 0
		.amdhsa_user_sgpr_kernarg_preload_offset 0
		.amdhsa_user_sgpr_private_segment_size 0
		.amdhsa_uses_dynamic_stack 0
		.amdhsa_system_sgpr_private_segment_wavefront_offset 0
		.amdhsa_system_sgpr_workgroup_id_x 1
		.amdhsa_system_sgpr_workgroup_id_y 1
		.amdhsa_system_sgpr_workgroup_id_z 0
		.amdhsa_system_sgpr_workgroup_info 0
		.amdhsa_system_vgpr_workitem_id 1
		.amdhsa_next_free_vgpr 34
		.amdhsa_next_free_sgpr 38
		.amdhsa_accum_offset 36
		.amdhsa_reserve_vcc 1
		.amdhsa_reserve_flat_scratch 0
		.amdhsa_float_round_mode_32 0
		.amdhsa_float_round_mode_16_64 0
		.amdhsa_float_denorm_mode_32 3
		.amdhsa_float_denorm_mode_16_64 3
		.amdhsa_dx10_clamp 1
		.amdhsa_ieee_mode 1
		.amdhsa_fp16_overflow 0
		.amdhsa_tg_split 0
		.amdhsa_exception_fp_ieee_invalid_op 0
		.amdhsa_exception_fp_denorm_src 0
		.amdhsa_exception_fp_ieee_div_zero 0
		.amdhsa_exception_fp_ieee_overflow 0
		.amdhsa_exception_fp_ieee_underflow 0
		.amdhsa_exception_fp_ieee_inexact 0
		.amdhsa_exception_int_div_zero 0
	.end_amdhsa_kernel
	.section	.text._ZN9rocsparseL29gebsrmm_small_blockdim_kernelILi2ELi3ELi3ELi16EdEEv20rocsparse_direction_20rocsparse_operation_iiNS_24const_host_device_scalarIT3_EEPKiS7_PKS4_iiS9_lS5_PS4_l21rocsparse_index_base_b,"axG",@progbits,_ZN9rocsparseL29gebsrmm_small_blockdim_kernelILi2ELi3ELi3ELi16EdEEv20rocsparse_direction_20rocsparse_operation_iiNS_24const_host_device_scalarIT3_EEPKiS7_PKS4_iiS9_lS5_PS4_l21rocsparse_index_base_b,comdat
.Lfunc_end16:
	.size	_ZN9rocsparseL29gebsrmm_small_blockdim_kernelILi2ELi3ELi3ELi16EdEEv20rocsparse_direction_20rocsparse_operation_iiNS_24const_host_device_scalarIT3_EEPKiS7_PKS4_iiS9_lS5_PS4_l21rocsparse_index_base_b, .Lfunc_end16-_ZN9rocsparseL29gebsrmm_small_blockdim_kernelILi2ELi3ELi3ELi16EdEEv20rocsparse_direction_20rocsparse_operation_iiNS_24const_host_device_scalarIT3_EEPKiS7_PKS4_iiS9_lS5_PS4_l21rocsparse_index_base_b
                                        ; -- End function
	.section	.AMDGPU.csdata,"",@progbits
; Kernel info:
; codeLenInByte = 1036
; NumSgprs: 42
; NumVgprs: 34
; NumAgprs: 0
; TotalNumVgprs: 34
; ScratchSize: 0
; MemoryBound: 0
; FloatMode: 240
; IeeeMode: 1
; LDSByteSize: 456 bytes/workgroup (compile time only)
; SGPRBlocks: 5
; VGPRBlocks: 4
; NumSGPRsForWavesPerEU: 42
; NumVGPRsForWavesPerEU: 34
; AccumOffset: 36
; Occupancy: 8
; WaveLimiterHint : 1
; COMPUTE_PGM_RSRC2:SCRATCH_EN: 0
; COMPUTE_PGM_RSRC2:USER_SGPR: 6
; COMPUTE_PGM_RSRC2:TRAP_HANDLER: 0
; COMPUTE_PGM_RSRC2:TGID_X_EN: 1
; COMPUTE_PGM_RSRC2:TGID_Y_EN: 1
; COMPUTE_PGM_RSRC2:TGID_Z_EN: 0
; COMPUTE_PGM_RSRC2:TIDIG_COMP_CNT: 1
; COMPUTE_PGM_RSRC3_GFX90A:ACCUM_OFFSET: 8
; COMPUTE_PGM_RSRC3_GFX90A:TG_SPLIT: 0
	.section	.text._ZN9rocsparseL29gebsrmm_small_blockdim_kernelILi2ELi4ELi4ELi16EdEEv20rocsparse_direction_20rocsparse_operation_iiNS_24const_host_device_scalarIT3_EEPKiS7_PKS4_iiS9_lS5_PS4_l21rocsparse_index_base_b,"axG",@progbits,_ZN9rocsparseL29gebsrmm_small_blockdim_kernelILi2ELi4ELi4ELi16EdEEv20rocsparse_direction_20rocsparse_operation_iiNS_24const_host_device_scalarIT3_EEPKiS7_PKS4_iiS9_lS5_PS4_l21rocsparse_index_base_b,comdat
	.globl	_ZN9rocsparseL29gebsrmm_small_blockdim_kernelILi2ELi4ELi4ELi16EdEEv20rocsparse_direction_20rocsparse_operation_iiNS_24const_host_device_scalarIT3_EEPKiS7_PKS4_iiS9_lS5_PS4_l21rocsparse_index_base_b ; -- Begin function _ZN9rocsparseL29gebsrmm_small_blockdim_kernelILi2ELi4ELi4ELi16EdEEv20rocsparse_direction_20rocsparse_operation_iiNS_24const_host_device_scalarIT3_EEPKiS7_PKS4_iiS9_lS5_PS4_l21rocsparse_index_base_b
	.p2align	8
	.type	_ZN9rocsparseL29gebsrmm_small_blockdim_kernelILi2ELi4ELi4ELi16EdEEv20rocsparse_direction_20rocsparse_operation_iiNS_24const_host_device_scalarIT3_EEPKiS7_PKS4_iiS9_lS5_PS4_l21rocsparse_index_base_b,@function
_ZN9rocsparseL29gebsrmm_small_blockdim_kernelILi2ELi4ELi4ELi16EdEEv20rocsparse_direction_20rocsparse_operation_iiNS_24const_host_device_scalarIT3_EEPKiS7_PKS4_iiS9_lS5_PS4_l21rocsparse_index_base_b: ; @_ZN9rocsparseL29gebsrmm_small_blockdim_kernelILi2ELi4ELi4ELi16EdEEv20rocsparse_direction_20rocsparse_operation_iiNS_24const_host_device_scalarIT3_EEPKiS7_PKS4_iiS9_lS5_PS4_l21rocsparse_index_base_b
; %bb.0:
	s_load_dwordx2 s[20:21], s[4:5], 0x60
	s_load_dwordx2 s[2:3], s[4:5], 0x10
	s_load_dwordx4 s[8:11], s[4:5], 0x40
	s_waitcnt lgkmcnt(0)
	s_bitcmp1_b32 s21, 0
	s_cselect_b64 s[12:13], -1, 0
	s_xor_b64 s[0:1], s[12:13], -1
	s_and_b64 vcc, exec, s[12:13]
	v_pk_mov_b32 v[4:5], s[2:3], s[2:3] op_sel:[0,1]
	s_cbranch_vccnz .LBB17_2
; %bb.1:
	v_pk_mov_b32 v[2:3], s[2:3], s[2:3] op_sel:[0,1]
	flat_load_dwordx2 v[4:5], v[2:3]
.LBB17_2:
	s_andn2_b64 vcc, exec, s[0:1]
	v_pk_mov_b32 v[2:3], s[10:11], s[10:11] op_sel:[0,1]
	s_cbranch_vccnz .LBB17_4
; %bb.3:
	v_pk_mov_b32 v[2:3], s[10:11], s[10:11] op_sel:[0,1]
	flat_load_dwordx2 v[2:3], v[2:3]
.LBB17_4:
	s_waitcnt vmcnt(0) lgkmcnt(0)
	v_cmp_neq_f64_e32 vcc, 0, v[4:5]
	v_cmp_neq_f64_e64 s[0:1], 1.0, v[2:3]
	s_or_b64 s[0:1], vcc, s[0:1]
	s_and_saveexec_b64 s[2:3], s[0:1]
	s_cbranch_execz .LBB17_23
; %bb.5:
	s_load_dwordx4 s[16:19], s[4:5], 0x0
	s_mov_b32 s24, 0
	s_mov_b32 s21, 0
	s_waitcnt lgkmcnt(0)
	s_cmp_lt_i32 s6, s18
	s_cselect_b64 s[22:23], -1, 0
	s_cmp_ge_i32 s6, s18
	s_cbranch_scc1 .LBB17_7
; %bb.6:
	s_load_dwordx2 s[2:3], s[4:5], 0x18
	s_mov_b32 s0, s7
	s_ashr_i32 s7, s6, 31
	s_lshl_b64 s[10:11], s[6:7], 2
	s_mov_b32 s7, s0
	s_waitcnt lgkmcnt(0)
	s_add_u32 s0, s2, s10
	s_addc_u32 s1, s3, s11
	s_load_dwordx2 s[0:1], s[0:1], 0x0
	s_waitcnt lgkmcnt(0)
	s_sub_i32 s24, s0, s20
	s_sub_i32 s21, s1, s20
.LBB17_7:
	s_load_dwordx2 s[10:11], s[4:5], 0x50
	v_bfe_u32 v8, v0, 10, 10
	v_and_b32_e32 v14, 0x3ff, v0
	v_lshl_add_u32 v0, s7, 4, v8
	v_ashrrev_i32_e32 v1, 31, v0
	v_cmp_gt_i32_e64 s[0:1], s19, v0
	v_cmp_gt_u32_e64 s[2:3], 2, v14
	s_cmp_ge_i32 s24, s21
	v_pk_mov_b32 v[6:7], 0, 0
	s_cbranch_scc1 .LBB17_18
; %bb.8:
	s_load_dwordx4 s[12:15], s[4:5], 0x20
	s_load_dwordx2 s[30:31], s[4:5], 0x38
	v_cmp_gt_u32_e32 vcc, 4, v14
	s_and_b64 s[18:19], vcc, s[0:1]
	v_cmp_gt_u32_e32 vcc, 4, v8
	v_lshlrev_b64 v[6:7], 3, v[0:1]
	s_and_b64 s[26:27], s[2:3], vcc
	s_waitcnt lgkmcnt(0)
	v_mov_b32_e32 v9, s31
	v_add_co_u32_e32 v15, vcc, s30, v6
	v_addc_co_u32_e32 v16, vcc, v9, v7, vcc
	v_mul_lo_u32 v10, v1, s8
	v_mul_lo_u32 v11, v0, s9
	v_mad_u64_u32 v[6:7], s[28:29], v0, s8, 0
	v_add3_u32 v7, v7, v11, v10
	v_lshlrev_b64 v[6:7], 3, v[6:7]
	v_add_co_u32_e32 v6, vcc, s30, v6
	v_addc_co_u32_e32 v7, vcc, v9, v7, vcc
	v_lshlrev_b32_e32 v9, 3, v14
	s_cmpk_lg_i32 s17, 0x6f
	v_add_co_u32_e32 v18, vcc, v6, v9
	s_cselect_b64 s[28:29], -1, 0
	v_addc_co_u32_e32 v19, vcc, 0, v7, vcc
	s_cmp_eq_u32 s16, 0
	s_cselect_b64 vcc, -1, 0
	s_ashr_i32 s25, s24, 31
	s_lshl_b64 s[16:17], s[24:25], 2
	v_lshlrev_b32_e32 v10, 2, v8
	v_lshlrev_b32_e32 v6, 1, v8
	;; [unrolled: 1-line block ×3, first 2 shown]
	s_add_u32 s12, s12, s16
	v_add_lshl_u32 v17, v10, v14, 3
	v_cndmask_b32_e32 v6, v6, v7, vcc
	v_cndmask_b32_e32 v7, v14, v8, vcc
	s_addc_u32 s13, s13, s17
	s_lshl_b32 s7, s24, 3
	v_pk_mov_b32 v[10:11], 0, 0
	v_add_u32_e32 v20, 0x200, v17
	v_add_u32_e32 v21, 0x200, v9
	v_lshlrev_b32_e32 v22, 5, v8
	v_add3_u32 v8, v7, v6, s7
	v_pk_mov_b32 v[6:7], v[10:11], v[10:11] op_sel:[0,1]
	s_branch .LBB17_10
.LBB17_9:                               ;   in Loop: Header=BB17_10 Depth=1
	s_or_b64 exec, exec, s[16:17]
	s_waitcnt lgkmcnt(0)
	; wave barrier
	s_waitcnt lgkmcnt(0)
	ds_read2_b64 v[24:27], v21 offset1:4
	ds_read_b128 v[28:31], v22
	ds_read_b128 v[32:35], v22 offset:16
	ds_read2_b64 v[36:39], v21 offset0:8 offset1:12
	s_add_i32 s24, s24, 1
	s_add_u32 s12, s12, 4
	s_waitcnt lgkmcnt(2)
	v_fmac_f64_e32 v[6:7], v[24:25], v[28:29]
	v_fmac_f64_e32 v[6:7], v[26:27], v[30:31]
	s_waitcnt lgkmcnt(0)
	v_fmac_f64_e32 v[6:7], v[36:37], v[32:33]
	s_addc_u32 s13, s13, 0
	v_fmac_f64_e32 v[6:7], v[38:39], v[34:35]
	s_cmp_ge_i32 s24, s21
	v_add_u32_e32 v8, 8, v8
	s_waitcnt lgkmcnt(0)
	; wave barrier
	s_cbranch_scc1 .LBB17_18
.LBB17_10:                              ; =>This Inner Loop Header: Depth=1
	v_pk_mov_b32 v[12:13], v[10:11], v[10:11] op_sel:[0,1]
	s_and_saveexec_b64 s[16:17], s[18:19]
	s_cbranch_execz .LBB17_16
; %bb.11:                               ;   in Loop: Header=BB17_10 Depth=1
	s_load_dword s7, s[12:13], 0x0
	s_and_b64 vcc, exec, s[28:29]
	s_waitcnt lgkmcnt(0)
	s_sub_i32 s7, s7, s20
	s_lshl_b32 s30, s7, 2
	s_cbranch_vccz .LBB17_13
; %bb.12:                               ;   in Loop: Header=BB17_10 Depth=1
	v_or_b32_e32 v9, s30, v14
	s_ashr_i32 s7, s30, 31
	v_mul_lo_u32 v23, v9, s9
	s_mul_i32 s7, s7, s8
	v_mad_u64_u32 v[12:13], s[34:35], v9, s8, 0
	v_add3_u32 v13, v13, v23, s7
	v_lshlrev_b64 v[12:13], 3, v[12:13]
	v_add_co_u32_e32 v12, vcc, v15, v12
	v_addc_co_u32_e32 v13, vcc, v16, v13, vcc
	s_cbranch_execz .LBB17_14
	s_branch .LBB17_15
.LBB17_13:                              ;   in Loop: Header=BB17_10 Depth=1
                                        ; implicit-def: $vgpr12_vgpr13
.LBB17_14:                              ;   in Loop: Header=BB17_10 Depth=1
	s_ashr_i32 s31, s30, 31
	s_lshl_b64 s[30:31], s[30:31], 3
	v_mov_b32_e32 v9, s31
	v_add_co_u32_e32 v12, vcc, s30, v18
	v_addc_co_u32_e32 v13, vcc, v19, v9, vcc
.LBB17_15:                              ;   in Loop: Header=BB17_10 Depth=1
	global_load_dwordx2 v[12:13], v[12:13], off
.LBB17_16:                              ;   in Loop: Header=BB17_10 Depth=1
	s_or_b64 exec, exec, s[16:17]
	s_waitcnt vmcnt(0)
	ds_write_b64 v17, v[12:13]
	s_and_saveexec_b64 s[16:17], s[26:27]
	s_cbranch_execz .LBB17_9
; %bb.17:                               ;   in Loop: Header=BB17_10 Depth=1
	v_ashrrev_i32_e32 v9, 31, v8
	v_lshlrev_b64 v[12:13], 3, v[8:9]
	v_mov_b32_e32 v9, s15
	v_add_co_u32_e32 v12, vcc, s14, v12
	v_addc_co_u32_e32 v13, vcc, v9, v13, vcc
	global_load_dwordx2 v[12:13], v[12:13], off
	s_waitcnt vmcnt(0)
	ds_write_b64 v20, v[12:13]
	s_branch .LBB17_9
.LBB17_18:
	s_and_b64 s[0:1], s[2:3], s[0:1]
	s_and_b64 s[0:1], s[22:23], s[0:1]
	s_and_b64 exec, exec, s[0:1]
	s_cbranch_execz .LBB17_23
; %bb.19:
	s_load_dwordx2 s[0:1], s[4:5], 0x58
	v_lshl_add_u32 v8, s6, 1, v14
	v_cmp_neq_f64_e32 vcc, 0, v[2:3]
	s_waitcnt lgkmcnt(0)
	v_mul_lo_u32 v1, v1, s0
	v_mul_lo_u32 v9, v0, s1
	v_mad_u64_u32 v[10:11], s[0:1], v0, s0, 0
	v_add3_u32 v11, v11, v9, v1
	v_ashrrev_i32_e32 v9, 31, v8
	v_mul_f64 v[0:1], v[4:5], v[6:7]
	v_lshlrev_b64 v[4:5], 3, v[10:11]
	s_and_saveexec_b64 s[0:1], vcc
	s_xor_b64 s[0:1], exec, s[0:1]
	s_cbranch_execz .LBB17_21
; %bb.20:
	v_mov_b32_e32 v6, s11
	v_add_co_u32_e32 v7, vcc, s10, v4
	v_addc_co_u32_e32 v6, vcc, v6, v5, vcc
	v_lshlrev_b64 v[4:5], 3, v[8:9]
	v_add_co_u32_e32 v4, vcc, v7, v4
	v_addc_co_u32_e32 v5, vcc, v6, v5, vcc
	global_load_dwordx2 v[6:7], v[4:5], off
                                        ; implicit-def: $vgpr8
	s_waitcnt vmcnt(0)
	v_fmac_f64_e32 v[0:1], v[2:3], v[6:7]
	global_store_dwordx2 v[4:5], v[0:1], off
                                        ; implicit-def: $vgpr4_vgpr5
                                        ; implicit-def: $vgpr0_vgpr1
.LBB17_21:
	s_andn2_saveexec_b64 s[0:1], s[0:1]
	s_cbranch_execz .LBB17_23
; %bb.22:
	v_mov_b32_e32 v2, s11
	v_add_co_u32_e32 v4, vcc, s10, v4
	v_addc_co_u32_e32 v5, vcc, v2, v5, vcc
	v_lshlrev_b64 v[2:3], 3, v[8:9]
	v_add_co_u32_e32 v2, vcc, v4, v2
	v_addc_co_u32_e32 v3, vcc, v5, v3, vcc
	global_store_dwordx2 v[2:3], v[0:1], off
.LBB17_23:
	s_endpgm
	.section	.rodata,"a",@progbits
	.p2align	6, 0x0
	.amdhsa_kernel _ZN9rocsparseL29gebsrmm_small_blockdim_kernelILi2ELi4ELi4ELi16EdEEv20rocsparse_direction_20rocsparse_operation_iiNS_24const_host_device_scalarIT3_EEPKiS7_PKS4_iiS9_lS5_PS4_l21rocsparse_index_base_b
		.amdhsa_group_segment_fixed_size 640
		.amdhsa_private_segment_fixed_size 0
		.amdhsa_kernarg_size 104
		.amdhsa_user_sgpr_count 6
		.amdhsa_user_sgpr_private_segment_buffer 1
		.amdhsa_user_sgpr_dispatch_ptr 0
		.amdhsa_user_sgpr_queue_ptr 0
		.amdhsa_user_sgpr_kernarg_segment_ptr 1
		.amdhsa_user_sgpr_dispatch_id 0
		.amdhsa_user_sgpr_flat_scratch_init 0
		.amdhsa_user_sgpr_kernarg_preload_length 0
		.amdhsa_user_sgpr_kernarg_preload_offset 0
		.amdhsa_user_sgpr_private_segment_size 0
		.amdhsa_uses_dynamic_stack 0
		.amdhsa_system_sgpr_private_segment_wavefront_offset 0
		.amdhsa_system_sgpr_workgroup_id_x 1
		.amdhsa_system_sgpr_workgroup_id_y 1
		.amdhsa_system_sgpr_workgroup_id_z 0
		.amdhsa_system_sgpr_workgroup_info 0
		.amdhsa_system_vgpr_workitem_id 1
		.amdhsa_next_free_vgpr 40
		.amdhsa_next_free_sgpr 36
		.amdhsa_accum_offset 40
		.amdhsa_reserve_vcc 1
		.amdhsa_reserve_flat_scratch 0
		.amdhsa_float_round_mode_32 0
		.amdhsa_float_round_mode_16_64 0
		.amdhsa_float_denorm_mode_32 3
		.amdhsa_float_denorm_mode_16_64 3
		.amdhsa_dx10_clamp 1
		.amdhsa_ieee_mode 1
		.amdhsa_fp16_overflow 0
		.amdhsa_tg_split 0
		.amdhsa_exception_fp_ieee_invalid_op 0
		.amdhsa_exception_fp_denorm_src 0
		.amdhsa_exception_fp_ieee_div_zero 0
		.amdhsa_exception_fp_ieee_overflow 0
		.amdhsa_exception_fp_ieee_underflow 0
		.amdhsa_exception_fp_ieee_inexact 0
		.amdhsa_exception_int_div_zero 0
	.end_amdhsa_kernel
	.section	.text._ZN9rocsparseL29gebsrmm_small_blockdim_kernelILi2ELi4ELi4ELi16EdEEv20rocsparse_direction_20rocsparse_operation_iiNS_24const_host_device_scalarIT3_EEPKiS7_PKS4_iiS9_lS5_PS4_l21rocsparse_index_base_b,"axG",@progbits,_ZN9rocsparseL29gebsrmm_small_blockdim_kernelILi2ELi4ELi4ELi16EdEEv20rocsparse_direction_20rocsparse_operation_iiNS_24const_host_device_scalarIT3_EEPKiS7_PKS4_iiS9_lS5_PS4_l21rocsparse_index_base_b,comdat
.Lfunc_end17:
	.size	_ZN9rocsparseL29gebsrmm_small_blockdim_kernelILi2ELi4ELi4ELi16EdEEv20rocsparse_direction_20rocsparse_operation_iiNS_24const_host_device_scalarIT3_EEPKiS7_PKS4_iiS9_lS5_PS4_l21rocsparse_index_base_b, .Lfunc_end17-_ZN9rocsparseL29gebsrmm_small_blockdim_kernelILi2ELi4ELi4ELi16EdEEv20rocsparse_direction_20rocsparse_operation_iiNS_24const_host_device_scalarIT3_EEPKiS7_PKS4_iiS9_lS5_PS4_l21rocsparse_index_base_b
                                        ; -- End function
	.section	.AMDGPU.csdata,"",@progbits
; Kernel info:
; codeLenInByte = 1024
; NumSgprs: 40
; NumVgprs: 40
; NumAgprs: 0
; TotalNumVgprs: 40
; ScratchSize: 0
; MemoryBound: 0
; FloatMode: 240
; IeeeMode: 1
; LDSByteSize: 640 bytes/workgroup (compile time only)
; SGPRBlocks: 4
; VGPRBlocks: 4
; NumSGPRsForWavesPerEU: 40
; NumVGPRsForWavesPerEU: 40
; AccumOffset: 40
; Occupancy: 8
; WaveLimiterHint : 1
; COMPUTE_PGM_RSRC2:SCRATCH_EN: 0
; COMPUTE_PGM_RSRC2:USER_SGPR: 6
; COMPUTE_PGM_RSRC2:TRAP_HANDLER: 0
; COMPUTE_PGM_RSRC2:TGID_X_EN: 1
; COMPUTE_PGM_RSRC2:TGID_Y_EN: 1
; COMPUTE_PGM_RSRC2:TGID_Z_EN: 0
; COMPUTE_PGM_RSRC2:TIDIG_COMP_CNT: 1
; COMPUTE_PGM_RSRC3_GFX90A:ACCUM_OFFSET: 9
; COMPUTE_PGM_RSRC3_GFX90A:TG_SPLIT: 0
	.section	.text._ZN9rocsparseL29gebsrmm_small_blockdim_kernelILi3ELi1ELi3ELi16EdEEv20rocsparse_direction_20rocsparse_operation_iiNS_24const_host_device_scalarIT3_EEPKiS7_PKS4_iiS9_lS5_PS4_l21rocsparse_index_base_b,"axG",@progbits,_ZN9rocsparseL29gebsrmm_small_blockdim_kernelILi3ELi1ELi3ELi16EdEEv20rocsparse_direction_20rocsparse_operation_iiNS_24const_host_device_scalarIT3_EEPKiS7_PKS4_iiS9_lS5_PS4_l21rocsparse_index_base_b,comdat
	.globl	_ZN9rocsparseL29gebsrmm_small_blockdim_kernelILi3ELi1ELi3ELi16EdEEv20rocsparse_direction_20rocsparse_operation_iiNS_24const_host_device_scalarIT3_EEPKiS7_PKS4_iiS9_lS5_PS4_l21rocsparse_index_base_b ; -- Begin function _ZN9rocsparseL29gebsrmm_small_blockdim_kernelILi3ELi1ELi3ELi16EdEEv20rocsparse_direction_20rocsparse_operation_iiNS_24const_host_device_scalarIT3_EEPKiS7_PKS4_iiS9_lS5_PS4_l21rocsparse_index_base_b
	.p2align	8
	.type	_ZN9rocsparseL29gebsrmm_small_blockdim_kernelILi3ELi1ELi3ELi16EdEEv20rocsparse_direction_20rocsparse_operation_iiNS_24const_host_device_scalarIT3_EEPKiS7_PKS4_iiS9_lS5_PS4_l21rocsparse_index_base_b,@function
_ZN9rocsparseL29gebsrmm_small_blockdim_kernelILi3ELi1ELi3ELi16EdEEv20rocsparse_direction_20rocsparse_operation_iiNS_24const_host_device_scalarIT3_EEPKiS7_PKS4_iiS9_lS5_PS4_l21rocsparse_index_base_b: ; @_ZN9rocsparseL29gebsrmm_small_blockdim_kernelILi3ELi1ELi3ELi16EdEEv20rocsparse_direction_20rocsparse_operation_iiNS_24const_host_device_scalarIT3_EEPKiS7_PKS4_iiS9_lS5_PS4_l21rocsparse_index_base_b
; %bb.0:
	s_load_dwordx2 s[20:21], s[4:5], 0x60
	s_load_dwordx2 s[2:3], s[4:5], 0x10
	s_load_dwordx4 s[8:11], s[4:5], 0x40
	s_waitcnt lgkmcnt(0)
	s_bitcmp1_b32 s21, 0
	s_cselect_b64 s[12:13], -1, 0
	s_xor_b64 s[0:1], s[12:13], -1
	s_and_b64 vcc, exec, s[12:13]
	v_pk_mov_b32 v[4:5], s[2:3], s[2:3] op_sel:[0,1]
	s_cbranch_vccnz .LBB18_2
; %bb.1:
	v_pk_mov_b32 v[2:3], s[2:3], s[2:3] op_sel:[0,1]
	flat_load_dwordx2 v[4:5], v[2:3]
.LBB18_2:
	s_andn2_b64 vcc, exec, s[0:1]
	v_pk_mov_b32 v[2:3], s[10:11], s[10:11] op_sel:[0,1]
	s_cbranch_vccnz .LBB18_4
; %bb.3:
	v_pk_mov_b32 v[2:3], s[10:11], s[10:11] op_sel:[0,1]
	flat_load_dwordx2 v[2:3], v[2:3]
.LBB18_4:
	s_waitcnt vmcnt(0) lgkmcnt(0)
	v_cmp_neq_f64_e32 vcc, 0, v[4:5]
	v_cmp_neq_f64_e64 s[0:1], 1.0, v[2:3]
	s_or_b64 s[0:1], vcc, s[0:1]
	s_and_saveexec_b64 s[2:3], s[0:1]
	s_cbranch_execz .LBB18_23
; %bb.5:
	s_load_dwordx4 s[16:19], s[4:5], 0x4
	s_mov_b32 s24, 0
	s_mov_b32 s21, 0
	s_waitcnt lgkmcnt(0)
	s_cmp_lt_i32 s6, s17
	s_cselect_b64 s[22:23], -1, 0
	s_cmp_ge_i32 s6, s17
	s_cbranch_scc1 .LBB18_7
; %bb.6:
	s_load_dwordx2 s[2:3], s[4:5], 0x18
	s_mov_b32 s0, s7
	s_ashr_i32 s7, s6, 31
	s_lshl_b64 s[10:11], s[6:7], 2
	s_mov_b32 s7, s0
	s_waitcnt lgkmcnt(0)
	s_add_u32 s0, s2, s10
	s_addc_u32 s1, s3, s11
	s_load_dwordx2 s[0:1], s[0:1], 0x0
	s_waitcnt lgkmcnt(0)
	s_sub_i32 s24, s0, s20
	s_sub_i32 s21, s1, s20
.LBB18_7:
	s_load_dwordx2 s[10:11], s[4:5], 0x50
	v_bfe_u32 v10, v0, 10, 10
	v_and_b32_e32 v6, 0x3ff, v0
	v_lshl_add_u32 v0, s7, 4, v10
	v_ashrrev_i32_e32 v1, 31, v0
	v_cmp_gt_i32_e64 s[0:1], s18, v0
	v_cmp_gt_u32_e64 s[2:3], 3, v6
	s_cmp_ge_i32 s24, s21
	v_pk_mov_b32 v[8:9], 0, 0
	s_cbranch_scc1 .LBB18_18
; %bb.8:
	s_load_dwordx4 s[12:15], s[4:5], 0x20
	s_load_dwordx2 s[28:29], s[4:5], 0x38
	v_cmp_eq_u32_e32 vcc, 0, v6
	s_and_b64 s[18:19], vcc, s[0:1]
	v_cmp_eq_u32_e32 vcc, 0, v10
	v_lshlrev_b64 v[8:9], 3, v[0:1]
	s_and_b64 s[26:27], s[2:3], vcc
	s_waitcnt lgkmcnt(0)
	v_mov_b32_e32 v11, s29
	v_add_co_u32_e32 v7, vcc, s28, v8
	v_addc_co_u32_e32 v16, vcc, v11, v9, vcc
	v_mul_lo_u32 v12, v1, s8
	v_mul_lo_u32 v13, v0, s9
	v_mad_u64_u32 v[8:9], s[30:31], v0, s8, 0
	v_add3_u32 v9, v9, v13, v12
	s_cmpk_lg_i32 s16, 0x6f
	s_cselect_b64 s[16:17], -1, 0
	v_lshlrev_b64 v[8:9], 3, v[8:9]
	s_ashr_i32 s25, s24, 31
	v_mul_u32_u24_e32 v10, 3, v10
	v_add_co_u32_e32 v18, vcc, s28, v8
	s_lshl_b64 s[28:29], s[24:25], 2
	v_add_lshl_u32 v17, v10, v6, 3
	v_mov_b32_e32 v8, 0x180
	s_add_u32 s12, s12, s28
	v_pk_mov_b32 v[12:13], 0, 0
	v_addc_co_u32_e32 v19, vcc, v11, v9, vcc
	v_add_u32_e32 v20, 0x180, v17
	v_lshl_add_u32 v21, v6, 3, v8
	v_lshlrev_b32_e32 v22, 3, v10
	s_addc_u32 s13, s13, s29
	v_mad_u64_u32 v[10:11], s[28:29], s24, 3, v[6:7]
	v_pk_mov_b32 v[8:9], v[12:13], v[12:13] op_sel:[0,1]
	s_branch .LBB18_10
.LBB18_9:                               ;   in Loop: Header=BB18_10 Depth=1
	s_or_b64 exec, exec, s[28:29]
	s_waitcnt lgkmcnt(0)
	; wave barrier
	s_waitcnt lgkmcnt(0)
	ds_read_b64 v[14:15], v21
	ds_read_b64 v[24:25], v22
	s_add_i32 s24, s24, 1
	s_add_u32 s12, s12, 4
	s_addc_u32 s13, s13, 0
	s_cmp_ge_i32 s24, s21
	s_waitcnt lgkmcnt(0)
	v_fmac_f64_e32 v[8:9], v[14:15], v[24:25]
	v_add_u32_e32 v10, 3, v10
	s_waitcnt lgkmcnt(0)
	; wave barrier
	s_cbranch_scc1 .LBB18_18
.LBB18_10:                              ; =>This Inner Loop Header: Depth=1
	v_pk_mov_b32 v[14:15], v[12:13], v[12:13] op_sel:[0,1]
	s_and_saveexec_b64 s[28:29], s[18:19]
	s_cbranch_execz .LBB18_16
; %bb.11:                               ;   in Loop: Header=BB18_10 Depth=1
	s_load_dword s7, s[12:13], 0x0
	s_and_b64 vcc, exec, s[16:17]
	s_waitcnt lgkmcnt(0)
	s_sub_i32 s30, s7, s20
	s_ashr_i32 s31, s30, 31
	s_cbranch_vccz .LBB18_13
; %bb.12:                               ;   in Loop: Header=BB18_10 Depth=1
	s_mul_i32 s7, s30, s9
	s_mul_hi_u32 s25, s30, s8
	s_add_i32 s7, s25, s7
	s_mul_i32 s25, s31, s8
	s_add_i32 s35, s7, s25
	s_mul_i32 s34, s30, s8
	s_lshl_b64 s[34:35], s[34:35], 3
	v_mov_b32_e32 v11, s35
	v_add_co_u32_e32 v14, vcc, s34, v7
	v_addc_co_u32_e32 v15, vcc, v16, v11, vcc
	s_cbranch_execz .LBB18_14
	s_branch .LBB18_15
.LBB18_13:                              ;   in Loop: Header=BB18_10 Depth=1
                                        ; implicit-def: $vgpr14_vgpr15
.LBB18_14:                              ;   in Loop: Header=BB18_10 Depth=1
	s_lshl_b64 s[30:31], s[30:31], 3
	v_mov_b32_e32 v11, s31
	v_add_co_u32_e32 v14, vcc, s30, v18
	v_addc_co_u32_e32 v15, vcc, v19, v11, vcc
.LBB18_15:                              ;   in Loop: Header=BB18_10 Depth=1
	global_load_dwordx2 v[14:15], v[14:15], off
.LBB18_16:                              ;   in Loop: Header=BB18_10 Depth=1
	s_or_b64 exec, exec, s[28:29]
	s_waitcnt vmcnt(0)
	ds_write_b64 v17, v[14:15]
	s_and_saveexec_b64 s[28:29], s[26:27]
	s_cbranch_execz .LBB18_9
; %bb.17:                               ;   in Loop: Header=BB18_10 Depth=1
	v_ashrrev_i32_e32 v11, 31, v10
	v_lshlrev_b64 v[14:15], 3, v[10:11]
	v_mov_b32_e32 v11, s15
	v_add_co_u32_e32 v14, vcc, s14, v14
	v_addc_co_u32_e32 v15, vcc, v11, v15, vcc
	global_load_dwordx2 v[14:15], v[14:15], off
	s_waitcnt vmcnt(0)
	ds_write_b64 v20, v[14:15]
	s_branch .LBB18_9
.LBB18_18:
	s_and_b64 s[0:1], s[2:3], s[0:1]
	s_and_b64 s[0:1], s[22:23], s[0:1]
	s_and_b64 exec, exec, s[0:1]
	s_cbranch_execz .LBB18_23
; %bb.19:
	s_load_dwordx2 s[0:1], s[4:5], 0x58
	v_mad_u64_u32 v[6:7], s[2:3], s6, 3, v[6:7]
	v_cmp_neq_f64_e32 vcc, 0, v[2:3]
	s_waitcnt lgkmcnt(0)
	v_mul_lo_u32 v1, v1, s0
	v_mul_lo_u32 v7, v0, s1
	v_mad_u64_u32 v[10:11], s[0:1], v0, s0, 0
	v_add3_u32 v11, v11, v7, v1
	v_ashrrev_i32_e32 v7, 31, v6
	v_mul_f64 v[0:1], v[4:5], v[8:9]
	v_lshlrev_b64 v[4:5], 3, v[10:11]
	s_and_saveexec_b64 s[0:1], vcc
	s_xor_b64 s[0:1], exec, s[0:1]
	s_cbranch_execz .LBB18_21
; %bb.20:
	v_mov_b32_e32 v8, s11
	v_add_co_u32_e32 v9, vcc, s10, v4
	v_addc_co_u32_e32 v8, vcc, v8, v5, vcc
	v_lshlrev_b64 v[4:5], 3, v[6:7]
	v_add_co_u32_e32 v4, vcc, v9, v4
	v_addc_co_u32_e32 v5, vcc, v8, v5, vcc
	global_load_dwordx2 v[6:7], v[4:5], off
	s_waitcnt vmcnt(0)
	v_fmac_f64_e32 v[0:1], v[2:3], v[6:7]
	global_store_dwordx2 v[4:5], v[0:1], off
                                        ; implicit-def: $vgpr6_vgpr7
                                        ; implicit-def: $vgpr4_vgpr5
                                        ; implicit-def: $vgpr0_vgpr1
.LBB18_21:
	s_andn2_saveexec_b64 s[0:1], s[0:1]
	s_cbranch_execz .LBB18_23
; %bb.22:
	v_mov_b32_e32 v2, s11
	v_add_co_u32_e32 v4, vcc, s10, v4
	v_addc_co_u32_e32 v5, vcc, v2, v5, vcc
	v_lshlrev_b64 v[2:3], 3, v[6:7]
	v_add_co_u32_e32 v2, vcc, v4, v2
	v_addc_co_u32_e32 v3, vcc, v5, v3, vcc
	global_store_dwordx2 v[2:3], v[0:1], off
.LBB18_23:
	s_endpgm
	.section	.rodata,"a",@progbits
	.p2align	6, 0x0
	.amdhsa_kernel _ZN9rocsparseL29gebsrmm_small_blockdim_kernelILi3ELi1ELi3ELi16EdEEv20rocsparse_direction_20rocsparse_operation_iiNS_24const_host_device_scalarIT3_EEPKiS7_PKS4_iiS9_lS5_PS4_l21rocsparse_index_base_b
		.amdhsa_group_segment_fixed_size 456
		.amdhsa_private_segment_fixed_size 0
		.amdhsa_kernarg_size 104
		.amdhsa_user_sgpr_count 6
		.amdhsa_user_sgpr_private_segment_buffer 1
		.amdhsa_user_sgpr_dispatch_ptr 0
		.amdhsa_user_sgpr_queue_ptr 0
		.amdhsa_user_sgpr_kernarg_segment_ptr 1
		.amdhsa_user_sgpr_dispatch_id 0
		.amdhsa_user_sgpr_flat_scratch_init 0
		.amdhsa_user_sgpr_kernarg_preload_length 0
		.amdhsa_user_sgpr_kernarg_preload_offset 0
		.amdhsa_user_sgpr_private_segment_size 0
		.amdhsa_uses_dynamic_stack 0
		.amdhsa_system_sgpr_private_segment_wavefront_offset 0
		.amdhsa_system_sgpr_workgroup_id_x 1
		.amdhsa_system_sgpr_workgroup_id_y 1
		.amdhsa_system_sgpr_workgroup_id_z 0
		.amdhsa_system_sgpr_workgroup_info 0
		.amdhsa_system_vgpr_workitem_id 1
		.amdhsa_next_free_vgpr 26
		.amdhsa_next_free_sgpr 36
		.amdhsa_accum_offset 28
		.amdhsa_reserve_vcc 1
		.amdhsa_reserve_flat_scratch 0
		.amdhsa_float_round_mode_32 0
		.amdhsa_float_round_mode_16_64 0
		.amdhsa_float_denorm_mode_32 3
		.amdhsa_float_denorm_mode_16_64 3
		.amdhsa_dx10_clamp 1
		.amdhsa_ieee_mode 1
		.amdhsa_fp16_overflow 0
		.amdhsa_tg_split 0
		.amdhsa_exception_fp_ieee_invalid_op 0
		.amdhsa_exception_fp_denorm_src 0
		.amdhsa_exception_fp_ieee_div_zero 0
		.amdhsa_exception_fp_ieee_overflow 0
		.amdhsa_exception_fp_ieee_underflow 0
		.amdhsa_exception_fp_ieee_inexact 0
		.amdhsa_exception_int_div_zero 0
	.end_amdhsa_kernel
	.section	.text._ZN9rocsparseL29gebsrmm_small_blockdim_kernelILi3ELi1ELi3ELi16EdEEv20rocsparse_direction_20rocsparse_operation_iiNS_24const_host_device_scalarIT3_EEPKiS7_PKS4_iiS9_lS5_PS4_l21rocsparse_index_base_b,"axG",@progbits,_ZN9rocsparseL29gebsrmm_small_blockdim_kernelILi3ELi1ELi3ELi16EdEEv20rocsparse_direction_20rocsparse_operation_iiNS_24const_host_device_scalarIT3_EEPKiS7_PKS4_iiS9_lS5_PS4_l21rocsparse_index_base_b,comdat
.Lfunc_end18:
	.size	_ZN9rocsparseL29gebsrmm_small_blockdim_kernelILi3ELi1ELi3ELi16EdEEv20rocsparse_direction_20rocsparse_operation_iiNS_24const_host_device_scalarIT3_EEPKiS7_PKS4_iiS9_lS5_PS4_l21rocsparse_index_base_b, .Lfunc_end18-_ZN9rocsparseL29gebsrmm_small_blockdim_kernelILi3ELi1ELi3ELi16EdEEv20rocsparse_direction_20rocsparse_operation_iiNS_24const_host_device_scalarIT3_EEPKiS7_PKS4_iiS9_lS5_PS4_l21rocsparse_index_base_b
                                        ; -- End function
	.section	.AMDGPU.csdata,"",@progbits
; Kernel info:
; codeLenInByte = 944
; NumSgprs: 40
; NumVgprs: 26
; NumAgprs: 0
; TotalNumVgprs: 26
; ScratchSize: 0
; MemoryBound: 0
; FloatMode: 240
; IeeeMode: 1
; LDSByteSize: 456 bytes/workgroup (compile time only)
; SGPRBlocks: 4
; VGPRBlocks: 3
; NumSGPRsForWavesPerEU: 40
; NumVGPRsForWavesPerEU: 26
; AccumOffset: 28
; Occupancy: 8
; WaveLimiterHint : 1
; COMPUTE_PGM_RSRC2:SCRATCH_EN: 0
; COMPUTE_PGM_RSRC2:USER_SGPR: 6
; COMPUTE_PGM_RSRC2:TRAP_HANDLER: 0
; COMPUTE_PGM_RSRC2:TGID_X_EN: 1
; COMPUTE_PGM_RSRC2:TGID_Y_EN: 1
; COMPUTE_PGM_RSRC2:TGID_Z_EN: 0
; COMPUTE_PGM_RSRC2:TIDIG_COMP_CNT: 1
; COMPUTE_PGM_RSRC3_GFX90A:ACCUM_OFFSET: 6
; COMPUTE_PGM_RSRC3_GFX90A:TG_SPLIT: 0
	.section	.text._ZN9rocsparseL29gebsrmm_small_blockdim_kernelILi3ELi2ELi3ELi16EdEEv20rocsparse_direction_20rocsparse_operation_iiNS_24const_host_device_scalarIT3_EEPKiS7_PKS4_iiS9_lS5_PS4_l21rocsparse_index_base_b,"axG",@progbits,_ZN9rocsparseL29gebsrmm_small_blockdim_kernelILi3ELi2ELi3ELi16EdEEv20rocsparse_direction_20rocsparse_operation_iiNS_24const_host_device_scalarIT3_EEPKiS7_PKS4_iiS9_lS5_PS4_l21rocsparse_index_base_b,comdat
	.globl	_ZN9rocsparseL29gebsrmm_small_blockdim_kernelILi3ELi2ELi3ELi16EdEEv20rocsparse_direction_20rocsparse_operation_iiNS_24const_host_device_scalarIT3_EEPKiS7_PKS4_iiS9_lS5_PS4_l21rocsparse_index_base_b ; -- Begin function _ZN9rocsparseL29gebsrmm_small_blockdim_kernelILi3ELi2ELi3ELi16EdEEv20rocsparse_direction_20rocsparse_operation_iiNS_24const_host_device_scalarIT3_EEPKiS7_PKS4_iiS9_lS5_PS4_l21rocsparse_index_base_b
	.p2align	8
	.type	_ZN9rocsparseL29gebsrmm_small_blockdim_kernelILi3ELi2ELi3ELi16EdEEv20rocsparse_direction_20rocsparse_operation_iiNS_24const_host_device_scalarIT3_EEPKiS7_PKS4_iiS9_lS5_PS4_l21rocsparse_index_base_b,@function
_ZN9rocsparseL29gebsrmm_small_blockdim_kernelILi3ELi2ELi3ELi16EdEEv20rocsparse_direction_20rocsparse_operation_iiNS_24const_host_device_scalarIT3_EEPKiS7_PKS4_iiS9_lS5_PS4_l21rocsparse_index_base_b: ; @_ZN9rocsparseL29gebsrmm_small_blockdim_kernelILi3ELi2ELi3ELi16EdEEv20rocsparse_direction_20rocsparse_operation_iiNS_24const_host_device_scalarIT3_EEPKiS7_PKS4_iiS9_lS5_PS4_l21rocsparse_index_base_b
; %bb.0:
	s_load_dwordx2 s[20:21], s[4:5], 0x60
	s_load_dwordx2 s[2:3], s[4:5], 0x10
	s_load_dwordx4 s[12:15], s[4:5], 0x40
	s_waitcnt lgkmcnt(0)
	s_bitcmp1_b32 s21, 0
	s_cselect_b64 s[8:9], -1, 0
	s_xor_b64 s[0:1], s[8:9], -1
	s_and_b64 vcc, exec, s[8:9]
	v_pk_mov_b32 v[4:5], s[2:3], s[2:3] op_sel:[0,1]
	s_cbranch_vccnz .LBB19_2
; %bb.1:
	v_pk_mov_b32 v[2:3], s[2:3], s[2:3] op_sel:[0,1]
	flat_load_dwordx2 v[4:5], v[2:3]
.LBB19_2:
	s_andn2_b64 vcc, exec, s[0:1]
	v_pk_mov_b32 v[2:3], s[14:15], s[14:15] op_sel:[0,1]
	s_cbranch_vccnz .LBB19_4
; %bb.3:
	v_pk_mov_b32 v[2:3], s[14:15], s[14:15] op_sel:[0,1]
	flat_load_dwordx2 v[2:3], v[2:3]
.LBB19_4:
	s_waitcnt vmcnt(0) lgkmcnt(0)
	v_cmp_neq_f64_e32 vcc, 0, v[4:5]
	v_cmp_neq_f64_e64 s[0:1], 1.0, v[2:3]
	s_or_b64 s[0:1], vcc, s[0:1]
	s_and_saveexec_b64 s[2:3], s[0:1]
	s_cbranch_execz .LBB19_23
; %bb.5:
	s_load_dwordx4 s[8:11], s[4:5], 0x0
	s_mov_b32 s24, 0
	s_mov_b32 s21, 0
	s_waitcnt lgkmcnt(0)
	s_cmp_lt_i32 s6, s10
	s_cselect_b64 s[22:23], -1, 0
	s_cmp_ge_i32 s6, s10
	s_cbranch_scc1 .LBB19_7
; %bb.6:
	s_load_dwordx2 s[2:3], s[4:5], 0x18
	s_mov_b32 s0, s7
	s_ashr_i32 s7, s6, 31
	s_lshl_b64 s[14:15], s[6:7], 2
	s_mov_b32 s7, s0
	s_waitcnt lgkmcnt(0)
	s_add_u32 s0, s2, s14
	s_addc_u32 s1, s3, s15
	s_load_dwordx2 s[0:1], s[0:1], 0x0
	s_waitcnt lgkmcnt(0)
	s_sub_i32 s24, s0, s20
	s_sub_i32 s21, s1, s20
.LBB19_7:
	s_load_dwordx2 s[14:15], s[4:5], 0x50
	v_bfe_u32 v10, v0, 10, 10
	v_and_b32_e32 v6, 0x3ff, v0
	v_lshl_add_u32 v0, s7, 4, v10
	v_ashrrev_i32_e32 v1, 31, v0
	v_cmp_gt_i32_e64 s[0:1], s11, v0
	v_cmp_gt_u32_e64 s[2:3], 3, v6
	s_cmp_ge_i32 s24, s21
	v_pk_mov_b32 v[8:9], 0, 0
	s_cbranch_scc1 .LBB19_18
; %bb.8:
	s_load_dwordx4 s[16:19], s[4:5], 0x20
	s_load_dwordx2 s[30:31], s[4:5], 0x38
	v_cmp_gt_u32_e32 vcc, 2, v6
	s_and_b64 s[10:11], vcc, s[0:1]
	v_cmp_gt_u32_e32 vcc, 2, v10
	v_lshlrev_b64 v[8:9], 3, v[0:1]
	s_and_b64 s[26:27], s[2:3], vcc
	s_waitcnt lgkmcnt(0)
	v_mov_b32_e32 v11, s31
	v_add_co_u32_e32 v7, vcc, s30, v8
	v_addc_co_u32_e32 v14, vcc, v11, v9, vcc
	v_mul_lo_u32 v12, v1, s12
	v_mul_lo_u32 v13, v0, s13
	v_mad_u64_u32 v[8:9], s[28:29], v0, s12, 0
	v_add3_u32 v9, v9, v13, v12
	s_cmpk_lg_i32 s9, 0x6f
	v_lshlrev_b64 v[8:9], 3, v[8:9]
	s_cselect_b64 s[28:29], -1, 0
	v_add_co_u32_e32 v8, vcc, s30, v8
	s_cmp_eq_u32 s8, 0
	v_addc_co_u32_e32 v9, vcc, v11, v9, vcc
	v_lshlrev_b32_e32 v11, 3, v6
	s_cselect_b64 s[8:9], -1, 0
	s_ashr_i32 s25, s24, 31
	v_mad_u32_u24 v13, v10, 3, v6
	v_add_co_u32_e32 v16, vcc, v8, v11
	v_lshlrev_b32_e32 v8, 1, v6
	s_lshl_b64 s[30:31], s[24:25], 2
	s_mul_i32 s7, s24, 6
	v_mul_u32_u24_e32 v12, 3, v10
	v_lshlrev_b32_e32 v15, 3, v13
	v_add_u32_e32 v19, 0x180, v11
	s_add_u32 s16, s16, s30
	v_add3_u32 v22, v10, s7, v8
	v_pk_mov_b32 v[10:11], 0, 0
	v_addc_co_u32_e32 v17, vcc, 0, v9, vcc
	v_add_u32_e32 v18, 0x180, v15
	v_lshlrev_b32_e32 v20, 3, v12
	s_addc_u32 s17, s17, s31
	v_add_u32_e32 v21, s7, v13
	v_pk_mov_b32 v[8:9], v[10:11], v[10:11] op_sel:[0,1]
	s_branch .LBB19_10
.LBB19_9:                               ;   in Loop: Header=BB19_10 Depth=1
	s_or_b64 exec, exec, s[30:31]
	s_waitcnt lgkmcnt(0)
	; wave barrier
	s_waitcnt lgkmcnt(0)
	ds_read2_b64 v[24:27], v20 offset1:1
	ds_read2_b64 v[28:31], v19 offset1:3
	s_add_i32 s24, s24, 1
	s_add_u32 s16, s16, 4
	s_addc_u32 s17, s17, 0
	v_add_u32_e32 v21, 6, v21
	s_waitcnt lgkmcnt(0)
	v_fmac_f64_e32 v[8:9], v[28:29], v[24:25]
	v_fmac_f64_e32 v[8:9], v[30:31], v[26:27]
	s_cmp_ge_i32 s24, s21
	v_add_u32_e32 v22, 6, v22
	s_waitcnt lgkmcnt(0)
	; wave barrier
	s_cbranch_scc1 .LBB19_18
.LBB19_10:                              ; =>This Inner Loop Header: Depth=1
	v_pk_mov_b32 v[12:13], v[10:11], v[10:11] op_sel:[0,1]
	s_and_saveexec_b64 s[30:31], s[10:11]
	s_cbranch_execz .LBB19_16
; %bb.11:                               ;   in Loop: Header=BB19_10 Depth=1
	s_load_dword s7, s[16:17], 0x0
	s_and_b64 vcc, exec, s[28:29]
	s_waitcnt lgkmcnt(0)
	s_sub_i32 s7, s7, s20
	s_lshl_b32 s34, s7, 1
	s_cbranch_vccz .LBB19_13
; %bb.12:                               ;   in Loop: Header=BB19_10 Depth=1
	v_or_b32_e32 v12, s34, v6
	s_ashr_i32 s7, s34, 31
	v_mul_lo_u32 v23, v12, s13
	s_mul_i32 s7, s7, s12
	v_mad_u64_u32 v[12:13], s[36:37], v12, s12, 0
	v_add3_u32 v13, v13, v23, s7
	v_lshlrev_b64 v[12:13], 3, v[12:13]
	v_add_co_u32_e32 v12, vcc, v7, v12
	v_addc_co_u32_e32 v13, vcc, v14, v13, vcc
	s_cbranch_execz .LBB19_14
	s_branch .LBB19_15
.LBB19_13:                              ;   in Loop: Header=BB19_10 Depth=1
                                        ; implicit-def: $vgpr12_vgpr13
.LBB19_14:                              ;   in Loop: Header=BB19_10 Depth=1
	s_ashr_i32 s35, s34, 31
	s_lshl_b64 s[34:35], s[34:35], 3
	v_mov_b32_e32 v13, s35
	v_add_co_u32_e32 v12, vcc, s34, v16
	v_addc_co_u32_e32 v13, vcc, v17, v13, vcc
.LBB19_15:                              ;   in Loop: Header=BB19_10 Depth=1
	global_load_dwordx2 v[12:13], v[12:13], off
.LBB19_16:                              ;   in Loop: Header=BB19_10 Depth=1
	s_or_b64 exec, exec, s[30:31]
	s_waitcnt vmcnt(0)
	ds_write_b64 v15, v[12:13]
	s_and_saveexec_b64 s[30:31], s[26:27]
	s_cbranch_execz .LBB19_9
; %bb.17:                               ;   in Loop: Header=BB19_10 Depth=1
	v_cndmask_b32_e64 v12, v21, v22, s[8:9]
	v_ashrrev_i32_e32 v13, 31, v12
	v_lshlrev_b64 v[12:13], 3, v[12:13]
	v_mov_b32_e32 v23, s19
	v_add_co_u32_e32 v12, vcc, s18, v12
	v_addc_co_u32_e32 v13, vcc, v23, v13, vcc
	global_load_dwordx2 v[12:13], v[12:13], off
	s_waitcnt vmcnt(0)
	ds_write_b64 v18, v[12:13]
	s_branch .LBB19_9
.LBB19_18:
	s_and_b64 s[0:1], s[2:3], s[0:1]
	s_and_b64 s[0:1], s[22:23], s[0:1]
	s_and_b64 exec, exec, s[0:1]
	s_cbranch_execz .LBB19_23
; %bb.19:
	s_load_dwordx2 s[0:1], s[4:5], 0x58
	v_mad_u64_u32 v[6:7], s[2:3], s6, 3, v[6:7]
	v_cmp_neq_f64_e32 vcc, 0, v[2:3]
	s_waitcnt lgkmcnt(0)
	v_mul_lo_u32 v1, v1, s0
	v_mul_lo_u32 v7, v0, s1
	v_mad_u64_u32 v[10:11], s[0:1], v0, s0, 0
	v_add3_u32 v11, v11, v7, v1
	v_ashrrev_i32_e32 v7, 31, v6
	v_mul_f64 v[0:1], v[4:5], v[8:9]
	v_lshlrev_b64 v[4:5], 3, v[10:11]
	s_and_saveexec_b64 s[0:1], vcc
	s_xor_b64 s[0:1], exec, s[0:1]
	s_cbranch_execz .LBB19_21
; %bb.20:
	v_mov_b32_e32 v8, s15
	v_add_co_u32_e32 v9, vcc, s14, v4
	v_addc_co_u32_e32 v8, vcc, v8, v5, vcc
	v_lshlrev_b64 v[4:5], 3, v[6:7]
	v_add_co_u32_e32 v4, vcc, v9, v4
	v_addc_co_u32_e32 v5, vcc, v8, v5, vcc
	global_load_dwordx2 v[6:7], v[4:5], off
	s_waitcnt vmcnt(0)
	v_fmac_f64_e32 v[0:1], v[2:3], v[6:7]
	global_store_dwordx2 v[4:5], v[0:1], off
                                        ; implicit-def: $vgpr6_vgpr7
                                        ; implicit-def: $vgpr4_vgpr5
                                        ; implicit-def: $vgpr0_vgpr1
.LBB19_21:
	s_andn2_saveexec_b64 s[0:1], s[0:1]
	s_cbranch_execz .LBB19_23
; %bb.22:
	v_mov_b32_e32 v2, s15
	v_add_co_u32_e32 v4, vcc, s14, v4
	v_addc_co_u32_e32 v5, vcc, v2, v5, vcc
	v_lshlrev_b64 v[2:3], 3, v[6:7]
	v_add_co_u32_e32 v2, vcc, v4, v2
	v_addc_co_u32_e32 v3, vcc, v5, v3, vcc
	global_store_dwordx2 v[2:3], v[0:1], off
.LBB19_23:
	s_endpgm
	.section	.rodata,"a",@progbits
	.p2align	6, 0x0
	.amdhsa_kernel _ZN9rocsparseL29gebsrmm_small_blockdim_kernelILi3ELi2ELi3ELi16EdEEv20rocsparse_direction_20rocsparse_operation_iiNS_24const_host_device_scalarIT3_EEPKiS7_PKS4_iiS9_lS5_PS4_l21rocsparse_index_base_b
		.amdhsa_group_segment_fixed_size 456
		.amdhsa_private_segment_fixed_size 0
		.amdhsa_kernarg_size 104
		.amdhsa_user_sgpr_count 6
		.amdhsa_user_sgpr_private_segment_buffer 1
		.amdhsa_user_sgpr_dispatch_ptr 0
		.amdhsa_user_sgpr_queue_ptr 0
		.amdhsa_user_sgpr_kernarg_segment_ptr 1
		.amdhsa_user_sgpr_dispatch_id 0
		.amdhsa_user_sgpr_flat_scratch_init 0
		.amdhsa_user_sgpr_kernarg_preload_length 0
		.amdhsa_user_sgpr_kernarg_preload_offset 0
		.amdhsa_user_sgpr_private_segment_size 0
		.amdhsa_uses_dynamic_stack 0
		.amdhsa_system_sgpr_private_segment_wavefront_offset 0
		.amdhsa_system_sgpr_workgroup_id_x 1
		.amdhsa_system_sgpr_workgroup_id_y 1
		.amdhsa_system_sgpr_workgroup_id_z 0
		.amdhsa_system_sgpr_workgroup_info 0
		.amdhsa_system_vgpr_workitem_id 1
		.amdhsa_next_free_vgpr 32
		.amdhsa_next_free_sgpr 38
		.amdhsa_accum_offset 32
		.amdhsa_reserve_vcc 1
		.amdhsa_reserve_flat_scratch 0
		.amdhsa_float_round_mode_32 0
		.amdhsa_float_round_mode_16_64 0
		.amdhsa_float_denorm_mode_32 3
		.amdhsa_float_denorm_mode_16_64 3
		.amdhsa_dx10_clamp 1
		.amdhsa_ieee_mode 1
		.amdhsa_fp16_overflow 0
		.amdhsa_tg_split 0
		.amdhsa_exception_fp_ieee_invalid_op 0
		.amdhsa_exception_fp_denorm_src 0
		.amdhsa_exception_fp_ieee_div_zero 0
		.amdhsa_exception_fp_ieee_overflow 0
		.amdhsa_exception_fp_ieee_underflow 0
		.amdhsa_exception_fp_ieee_inexact 0
		.amdhsa_exception_int_div_zero 0
	.end_amdhsa_kernel
	.section	.text._ZN9rocsparseL29gebsrmm_small_blockdim_kernelILi3ELi2ELi3ELi16EdEEv20rocsparse_direction_20rocsparse_operation_iiNS_24const_host_device_scalarIT3_EEPKiS7_PKS4_iiS9_lS5_PS4_l21rocsparse_index_base_b,"axG",@progbits,_ZN9rocsparseL29gebsrmm_small_blockdim_kernelILi3ELi2ELi3ELi16EdEEv20rocsparse_direction_20rocsparse_operation_iiNS_24const_host_device_scalarIT3_EEPKiS7_PKS4_iiS9_lS5_PS4_l21rocsparse_index_base_b,comdat
.Lfunc_end19:
	.size	_ZN9rocsparseL29gebsrmm_small_blockdim_kernelILi3ELi2ELi3ELi16EdEEv20rocsparse_direction_20rocsparse_operation_iiNS_24const_host_device_scalarIT3_EEPKiS7_PKS4_iiS9_lS5_PS4_l21rocsparse_index_base_b, .Lfunc_end19-_ZN9rocsparseL29gebsrmm_small_blockdim_kernelILi3ELi2ELi3ELi16EdEEv20rocsparse_direction_20rocsparse_operation_iiNS_24const_host_device_scalarIT3_EEPKiS7_PKS4_iiS9_lS5_PS4_l21rocsparse_index_base_b
                                        ; -- End function
	.section	.AMDGPU.csdata,"",@progbits
; Kernel info:
; codeLenInByte = 1004
; NumSgprs: 42
; NumVgprs: 32
; NumAgprs: 0
; TotalNumVgprs: 32
; ScratchSize: 0
; MemoryBound: 0
; FloatMode: 240
; IeeeMode: 1
; LDSByteSize: 456 bytes/workgroup (compile time only)
; SGPRBlocks: 5
; VGPRBlocks: 3
; NumSGPRsForWavesPerEU: 42
; NumVGPRsForWavesPerEU: 32
; AccumOffset: 32
; Occupancy: 8
; WaveLimiterHint : 1
; COMPUTE_PGM_RSRC2:SCRATCH_EN: 0
; COMPUTE_PGM_RSRC2:USER_SGPR: 6
; COMPUTE_PGM_RSRC2:TRAP_HANDLER: 0
; COMPUTE_PGM_RSRC2:TGID_X_EN: 1
; COMPUTE_PGM_RSRC2:TGID_Y_EN: 1
; COMPUTE_PGM_RSRC2:TGID_Z_EN: 0
; COMPUTE_PGM_RSRC2:TIDIG_COMP_CNT: 1
; COMPUTE_PGM_RSRC3_GFX90A:ACCUM_OFFSET: 7
; COMPUTE_PGM_RSRC3_GFX90A:TG_SPLIT: 0
	.section	.text._ZN9rocsparseL29gebsrmm_small_blockdim_kernelILi3ELi4ELi4ELi16EdEEv20rocsparse_direction_20rocsparse_operation_iiNS_24const_host_device_scalarIT3_EEPKiS7_PKS4_iiS9_lS5_PS4_l21rocsparse_index_base_b,"axG",@progbits,_ZN9rocsparseL29gebsrmm_small_blockdim_kernelILi3ELi4ELi4ELi16EdEEv20rocsparse_direction_20rocsparse_operation_iiNS_24const_host_device_scalarIT3_EEPKiS7_PKS4_iiS9_lS5_PS4_l21rocsparse_index_base_b,comdat
	.globl	_ZN9rocsparseL29gebsrmm_small_blockdim_kernelILi3ELi4ELi4ELi16EdEEv20rocsparse_direction_20rocsparse_operation_iiNS_24const_host_device_scalarIT3_EEPKiS7_PKS4_iiS9_lS5_PS4_l21rocsparse_index_base_b ; -- Begin function _ZN9rocsparseL29gebsrmm_small_blockdim_kernelILi3ELi4ELi4ELi16EdEEv20rocsparse_direction_20rocsparse_operation_iiNS_24const_host_device_scalarIT3_EEPKiS7_PKS4_iiS9_lS5_PS4_l21rocsparse_index_base_b
	.p2align	8
	.type	_ZN9rocsparseL29gebsrmm_small_blockdim_kernelILi3ELi4ELi4ELi16EdEEv20rocsparse_direction_20rocsparse_operation_iiNS_24const_host_device_scalarIT3_EEPKiS7_PKS4_iiS9_lS5_PS4_l21rocsparse_index_base_b,@function
_ZN9rocsparseL29gebsrmm_small_blockdim_kernelILi3ELi4ELi4ELi16EdEEv20rocsparse_direction_20rocsparse_operation_iiNS_24const_host_device_scalarIT3_EEPKiS7_PKS4_iiS9_lS5_PS4_l21rocsparse_index_base_b: ; @_ZN9rocsparseL29gebsrmm_small_blockdim_kernelILi3ELi4ELi4ELi16EdEEv20rocsparse_direction_20rocsparse_operation_iiNS_24const_host_device_scalarIT3_EEPKiS7_PKS4_iiS9_lS5_PS4_l21rocsparse_index_base_b
; %bb.0:
	s_load_dwordx2 s[20:21], s[4:5], 0x60
	s_load_dwordx2 s[2:3], s[4:5], 0x10
	s_load_dwordx4 s[12:15], s[4:5], 0x40
	s_waitcnt lgkmcnt(0)
	s_bitcmp1_b32 s21, 0
	s_cselect_b64 s[8:9], -1, 0
	s_xor_b64 s[0:1], s[8:9], -1
	s_and_b64 vcc, exec, s[8:9]
	v_pk_mov_b32 v[4:5], s[2:3], s[2:3] op_sel:[0,1]
	s_cbranch_vccnz .LBB20_2
; %bb.1:
	v_pk_mov_b32 v[2:3], s[2:3], s[2:3] op_sel:[0,1]
	flat_load_dwordx2 v[4:5], v[2:3]
.LBB20_2:
	s_andn2_b64 vcc, exec, s[0:1]
	v_pk_mov_b32 v[2:3], s[14:15], s[14:15] op_sel:[0,1]
	s_cbranch_vccnz .LBB20_4
; %bb.3:
	v_pk_mov_b32 v[2:3], s[14:15], s[14:15] op_sel:[0,1]
	flat_load_dwordx2 v[2:3], v[2:3]
.LBB20_4:
	s_waitcnt vmcnt(0) lgkmcnt(0)
	v_cmp_neq_f64_e32 vcc, 0, v[4:5]
	v_cmp_neq_f64_e64 s[0:1], 1.0, v[2:3]
	s_or_b64 s[0:1], vcc, s[0:1]
	s_and_saveexec_b64 s[2:3], s[0:1]
	s_cbranch_execz .LBB20_23
; %bb.5:
	s_load_dwordx4 s[8:11], s[4:5], 0x0
	s_mov_b32 s24, 0
	s_mov_b32 s21, 0
	s_waitcnt lgkmcnt(0)
	s_cmp_lt_i32 s6, s10
	s_cselect_b64 s[22:23], -1, 0
	s_cmp_ge_i32 s6, s10
	s_cbranch_scc1 .LBB20_7
; %bb.6:
	s_load_dwordx2 s[2:3], s[4:5], 0x18
	s_mov_b32 s0, s7
	s_ashr_i32 s7, s6, 31
	s_lshl_b64 s[14:15], s[6:7], 2
	s_mov_b32 s7, s0
	s_waitcnt lgkmcnt(0)
	s_add_u32 s0, s2, s14
	s_addc_u32 s1, s3, s15
	s_load_dwordx2 s[0:1], s[0:1], 0x0
	s_waitcnt lgkmcnt(0)
	s_sub_i32 s24, s0, s20
	s_sub_i32 s21, s1, s20
.LBB20_7:
	s_load_dwordx2 s[14:15], s[4:5], 0x50
	v_bfe_u32 v10, v0, 10, 10
	v_and_b32_e32 v6, 0x3ff, v0
	v_lshl_add_u32 v0, s7, 4, v10
	v_ashrrev_i32_e32 v1, 31, v0
	v_cmp_gt_i32_e64 s[0:1], s11, v0
	v_cmp_gt_u32_e64 s[2:3], 3, v6
	s_cmp_ge_i32 s24, s21
	v_pk_mov_b32 v[8:9], 0, 0
	s_cbranch_scc1 .LBB20_18
; %bb.8:
	s_load_dwordx4 s[16:19], s[4:5], 0x20
	s_load_dwordx2 s[30:31], s[4:5], 0x38
	v_cmp_gt_u32_e32 vcc, 4, v6
	s_and_b64 s[10:11], vcc, s[0:1]
	v_cmp_gt_u32_e32 vcc, 4, v10
	v_lshlrev_b64 v[8:9], 3, v[0:1]
	s_and_b64 s[26:27], s[2:3], vcc
	s_waitcnt lgkmcnt(0)
	v_mov_b32_e32 v11, s31
	v_add_co_u32_e32 v7, vcc, s30, v8
	v_addc_co_u32_e32 v14, vcc, v11, v9, vcc
	v_mul_lo_u32 v12, v1, s12
	v_mul_lo_u32 v13, v0, s13
	v_mad_u64_u32 v[8:9], s[28:29], v0, s12, 0
	v_add3_u32 v9, v9, v13, v12
	s_cmpk_lg_i32 s9, 0x6f
	v_lshlrev_b64 v[8:9], 3, v[8:9]
	s_cselect_b64 s[28:29], -1, 0
	v_add_co_u32_e32 v8, vcc, s30, v8
	s_cmp_eq_u32 s8, 0
	v_addc_co_u32_e32 v9, vcc, v11, v9, vcc
	v_lshlrev_b32_e32 v11, 3, v6
	s_cselect_b64 s[8:9], -1, 0
	s_ashr_i32 s25, s24, 31
	v_lshlrev_b32_e32 v12, 2, v10
	v_add_co_u32_e32 v16, vcc, v8, v11
	v_lshlrev_b32_e32 v8, 2, v6
	s_lshl_b64 s[30:31], s[24:25], 2
	s_mul_i32 s7, s24, 12
	v_add_lshl_u32 v15, v12, v6, 3
	v_addc_co_u32_e32 v17, vcc, 0, v9, vcc
	v_add_u32_e32 v19, 0x200, v11
	v_lshlrev_b32_e32 v20, 5, v10
	s_add_u32 s16, s16, s30
	v_mul_u32_u24_e32 v9, 3, v10
	v_add3_u32 v22, v10, s7, v8
	v_pk_mov_b32 v[10:11], 0, 0
	v_add_u32_e32 v18, 0x200, v15
	s_addc_u32 s17, s17, s31
	v_add3_u32 v21, v6, s7, v9
	v_pk_mov_b32 v[8:9], v[10:11], v[10:11] op_sel:[0,1]
	s_branch .LBB20_10
.LBB20_9:                               ;   in Loop: Header=BB20_10 Depth=1
	s_or_b64 exec, exec, s[30:31]
	s_waitcnt lgkmcnt(0)
	; wave barrier
	s_waitcnt lgkmcnt(0)
	ds_read2_b64 v[24:27], v19 offset1:4
	ds_read_b128 v[28:31], v20
	ds_read_b128 v[32:35], v20 offset:16
	ds_read2_b64 v[36:39], v19 offset0:8 offset1:12
	s_add_i32 s24, s24, 1
	s_add_u32 s16, s16, 4
	s_waitcnt lgkmcnt(2)
	v_fmac_f64_e32 v[8:9], v[24:25], v[28:29]
	v_fmac_f64_e32 v[8:9], v[26:27], v[30:31]
	s_waitcnt lgkmcnt(0)
	v_fmac_f64_e32 v[8:9], v[36:37], v[32:33]
	s_addc_u32 s17, s17, 0
	v_fmac_f64_e32 v[8:9], v[38:39], v[34:35]
	v_add_u32_e32 v21, 12, v21
	s_cmp_ge_i32 s24, s21
	v_add_u32_e32 v22, 12, v22
	s_waitcnt lgkmcnt(0)
	; wave barrier
	s_cbranch_scc1 .LBB20_18
.LBB20_10:                              ; =>This Inner Loop Header: Depth=1
	v_pk_mov_b32 v[12:13], v[10:11], v[10:11] op_sel:[0,1]
	s_and_saveexec_b64 s[30:31], s[10:11]
	s_cbranch_execz .LBB20_16
; %bb.11:                               ;   in Loop: Header=BB20_10 Depth=1
	s_load_dword s7, s[16:17], 0x0
	s_and_b64 vcc, exec, s[28:29]
	s_waitcnt lgkmcnt(0)
	s_sub_i32 s7, s7, s20
	s_lshl_b32 s34, s7, 2
	s_cbranch_vccz .LBB20_13
; %bb.12:                               ;   in Loop: Header=BB20_10 Depth=1
	v_or_b32_e32 v12, s34, v6
	s_ashr_i32 s7, s34, 31
	v_mul_lo_u32 v23, v12, s13
	s_mul_i32 s7, s7, s12
	v_mad_u64_u32 v[12:13], s[36:37], v12, s12, 0
	v_add3_u32 v13, v13, v23, s7
	v_lshlrev_b64 v[12:13], 3, v[12:13]
	v_add_co_u32_e32 v12, vcc, v7, v12
	v_addc_co_u32_e32 v13, vcc, v14, v13, vcc
	s_cbranch_execz .LBB20_14
	s_branch .LBB20_15
.LBB20_13:                              ;   in Loop: Header=BB20_10 Depth=1
                                        ; implicit-def: $vgpr12_vgpr13
.LBB20_14:                              ;   in Loop: Header=BB20_10 Depth=1
	s_ashr_i32 s35, s34, 31
	s_lshl_b64 s[34:35], s[34:35], 3
	v_mov_b32_e32 v13, s35
	v_add_co_u32_e32 v12, vcc, s34, v16
	v_addc_co_u32_e32 v13, vcc, v17, v13, vcc
.LBB20_15:                              ;   in Loop: Header=BB20_10 Depth=1
	global_load_dwordx2 v[12:13], v[12:13], off
.LBB20_16:                              ;   in Loop: Header=BB20_10 Depth=1
	s_or_b64 exec, exec, s[30:31]
	s_waitcnt vmcnt(0)
	ds_write_b64 v15, v[12:13]
	s_and_saveexec_b64 s[30:31], s[26:27]
	s_cbranch_execz .LBB20_9
; %bb.17:                               ;   in Loop: Header=BB20_10 Depth=1
	v_cndmask_b32_e64 v12, v21, v22, s[8:9]
	v_ashrrev_i32_e32 v13, 31, v12
	v_lshlrev_b64 v[12:13], 3, v[12:13]
	v_mov_b32_e32 v23, s19
	v_add_co_u32_e32 v12, vcc, s18, v12
	v_addc_co_u32_e32 v13, vcc, v23, v13, vcc
	global_load_dwordx2 v[12:13], v[12:13], off
	s_waitcnt vmcnt(0)
	ds_write_b64 v18, v[12:13]
	s_branch .LBB20_9
.LBB20_18:
	s_and_b64 s[0:1], s[2:3], s[0:1]
	s_and_b64 s[0:1], s[22:23], s[0:1]
	s_and_b64 exec, exec, s[0:1]
	s_cbranch_execz .LBB20_23
; %bb.19:
	s_load_dwordx2 s[0:1], s[4:5], 0x58
	v_mad_u64_u32 v[6:7], s[2:3], s6, 3, v[6:7]
	v_cmp_neq_f64_e32 vcc, 0, v[2:3]
	s_waitcnt lgkmcnt(0)
	v_mul_lo_u32 v1, v1, s0
	v_mul_lo_u32 v7, v0, s1
	v_mad_u64_u32 v[10:11], s[0:1], v0, s0, 0
	v_add3_u32 v11, v11, v7, v1
	v_ashrrev_i32_e32 v7, 31, v6
	v_mul_f64 v[0:1], v[4:5], v[8:9]
	v_lshlrev_b64 v[4:5], 3, v[10:11]
	s_and_saveexec_b64 s[0:1], vcc
	s_xor_b64 s[0:1], exec, s[0:1]
	s_cbranch_execz .LBB20_21
; %bb.20:
	v_mov_b32_e32 v8, s15
	v_add_co_u32_e32 v9, vcc, s14, v4
	v_addc_co_u32_e32 v8, vcc, v8, v5, vcc
	v_lshlrev_b64 v[4:5], 3, v[6:7]
	v_add_co_u32_e32 v4, vcc, v9, v4
	v_addc_co_u32_e32 v5, vcc, v8, v5, vcc
	global_load_dwordx2 v[6:7], v[4:5], off
	s_waitcnt vmcnt(0)
	v_fmac_f64_e32 v[0:1], v[2:3], v[6:7]
	global_store_dwordx2 v[4:5], v[0:1], off
                                        ; implicit-def: $vgpr6_vgpr7
                                        ; implicit-def: $vgpr4_vgpr5
                                        ; implicit-def: $vgpr0_vgpr1
.LBB20_21:
	s_andn2_saveexec_b64 s[0:1], s[0:1]
	s_cbranch_execz .LBB20_23
; %bb.22:
	v_mov_b32_e32 v2, s15
	v_add_co_u32_e32 v4, vcc, s14, v4
	v_addc_co_u32_e32 v5, vcc, v2, v5, vcc
	v_lshlrev_b64 v[2:3], 3, v[6:7]
	v_add_co_u32_e32 v2, vcc, v4, v2
	v_addc_co_u32_e32 v3, vcc, v5, v3, vcc
	global_store_dwordx2 v[2:3], v[0:1], off
.LBB20_23:
	s_endpgm
	.section	.rodata,"a",@progbits
	.p2align	6, 0x0
	.amdhsa_kernel _ZN9rocsparseL29gebsrmm_small_blockdim_kernelILi3ELi4ELi4ELi16EdEEv20rocsparse_direction_20rocsparse_operation_iiNS_24const_host_device_scalarIT3_EEPKiS7_PKS4_iiS9_lS5_PS4_l21rocsparse_index_base_b
		.amdhsa_group_segment_fixed_size 640
		.amdhsa_private_segment_fixed_size 0
		.amdhsa_kernarg_size 104
		.amdhsa_user_sgpr_count 6
		.amdhsa_user_sgpr_private_segment_buffer 1
		.amdhsa_user_sgpr_dispatch_ptr 0
		.amdhsa_user_sgpr_queue_ptr 0
		.amdhsa_user_sgpr_kernarg_segment_ptr 1
		.amdhsa_user_sgpr_dispatch_id 0
		.amdhsa_user_sgpr_flat_scratch_init 0
		.amdhsa_user_sgpr_kernarg_preload_length 0
		.amdhsa_user_sgpr_kernarg_preload_offset 0
		.amdhsa_user_sgpr_private_segment_size 0
		.amdhsa_uses_dynamic_stack 0
		.amdhsa_system_sgpr_private_segment_wavefront_offset 0
		.amdhsa_system_sgpr_workgroup_id_x 1
		.amdhsa_system_sgpr_workgroup_id_y 1
		.amdhsa_system_sgpr_workgroup_id_z 0
		.amdhsa_system_sgpr_workgroup_info 0
		.amdhsa_system_vgpr_workitem_id 1
		.amdhsa_next_free_vgpr 40
		.amdhsa_next_free_sgpr 38
		.amdhsa_accum_offset 40
		.amdhsa_reserve_vcc 1
		.amdhsa_reserve_flat_scratch 0
		.amdhsa_float_round_mode_32 0
		.amdhsa_float_round_mode_16_64 0
		.amdhsa_float_denorm_mode_32 3
		.amdhsa_float_denorm_mode_16_64 3
		.amdhsa_dx10_clamp 1
		.amdhsa_ieee_mode 1
		.amdhsa_fp16_overflow 0
		.amdhsa_tg_split 0
		.amdhsa_exception_fp_ieee_invalid_op 0
		.amdhsa_exception_fp_denorm_src 0
		.amdhsa_exception_fp_ieee_div_zero 0
		.amdhsa_exception_fp_ieee_overflow 0
		.amdhsa_exception_fp_ieee_underflow 0
		.amdhsa_exception_fp_ieee_inexact 0
		.amdhsa_exception_int_div_zero 0
	.end_amdhsa_kernel
	.section	.text._ZN9rocsparseL29gebsrmm_small_blockdim_kernelILi3ELi4ELi4ELi16EdEEv20rocsparse_direction_20rocsparse_operation_iiNS_24const_host_device_scalarIT3_EEPKiS7_PKS4_iiS9_lS5_PS4_l21rocsparse_index_base_b,"axG",@progbits,_ZN9rocsparseL29gebsrmm_small_blockdim_kernelILi3ELi4ELi4ELi16EdEEv20rocsparse_direction_20rocsparse_operation_iiNS_24const_host_device_scalarIT3_EEPKiS7_PKS4_iiS9_lS5_PS4_l21rocsparse_index_base_b,comdat
.Lfunc_end20:
	.size	_ZN9rocsparseL29gebsrmm_small_blockdim_kernelILi3ELi4ELi4ELi16EdEEv20rocsparse_direction_20rocsparse_operation_iiNS_24const_host_device_scalarIT3_EEPKiS7_PKS4_iiS9_lS5_PS4_l21rocsparse_index_base_b, .Lfunc_end20-_ZN9rocsparseL29gebsrmm_small_blockdim_kernelILi3ELi4ELi4ELi16EdEEv20rocsparse_direction_20rocsparse_operation_iiNS_24const_host_device_scalarIT3_EEPKiS7_PKS4_iiS9_lS5_PS4_l21rocsparse_index_base_b
                                        ; -- End function
	.section	.AMDGPU.csdata,"",@progbits
; Kernel info:
; codeLenInByte = 1036
; NumSgprs: 42
; NumVgprs: 40
; NumAgprs: 0
; TotalNumVgprs: 40
; ScratchSize: 0
; MemoryBound: 0
; FloatMode: 240
; IeeeMode: 1
; LDSByteSize: 640 bytes/workgroup (compile time only)
; SGPRBlocks: 5
; VGPRBlocks: 4
; NumSGPRsForWavesPerEU: 42
; NumVGPRsForWavesPerEU: 40
; AccumOffset: 40
; Occupancy: 8
; WaveLimiterHint : 1
; COMPUTE_PGM_RSRC2:SCRATCH_EN: 0
; COMPUTE_PGM_RSRC2:USER_SGPR: 6
; COMPUTE_PGM_RSRC2:TRAP_HANDLER: 0
; COMPUTE_PGM_RSRC2:TGID_X_EN: 1
; COMPUTE_PGM_RSRC2:TGID_Y_EN: 1
; COMPUTE_PGM_RSRC2:TGID_Z_EN: 0
; COMPUTE_PGM_RSRC2:TIDIG_COMP_CNT: 1
; COMPUTE_PGM_RSRC3_GFX90A:ACCUM_OFFSET: 9
; COMPUTE_PGM_RSRC3_GFX90A:TG_SPLIT: 0
	.section	.text._ZN9rocsparseL29gebsrmm_small_blockdim_kernelILi4ELi1ELi4ELi16EdEEv20rocsparse_direction_20rocsparse_operation_iiNS_24const_host_device_scalarIT3_EEPKiS7_PKS4_iiS9_lS5_PS4_l21rocsparse_index_base_b,"axG",@progbits,_ZN9rocsparseL29gebsrmm_small_blockdim_kernelILi4ELi1ELi4ELi16EdEEv20rocsparse_direction_20rocsparse_operation_iiNS_24const_host_device_scalarIT3_EEPKiS7_PKS4_iiS9_lS5_PS4_l21rocsparse_index_base_b,comdat
	.globl	_ZN9rocsparseL29gebsrmm_small_blockdim_kernelILi4ELi1ELi4ELi16EdEEv20rocsparse_direction_20rocsparse_operation_iiNS_24const_host_device_scalarIT3_EEPKiS7_PKS4_iiS9_lS5_PS4_l21rocsparse_index_base_b ; -- Begin function _ZN9rocsparseL29gebsrmm_small_blockdim_kernelILi4ELi1ELi4ELi16EdEEv20rocsparse_direction_20rocsparse_operation_iiNS_24const_host_device_scalarIT3_EEPKiS7_PKS4_iiS9_lS5_PS4_l21rocsparse_index_base_b
	.p2align	8
	.type	_ZN9rocsparseL29gebsrmm_small_blockdim_kernelILi4ELi1ELi4ELi16EdEEv20rocsparse_direction_20rocsparse_operation_iiNS_24const_host_device_scalarIT3_EEPKiS7_PKS4_iiS9_lS5_PS4_l21rocsparse_index_base_b,@function
_ZN9rocsparseL29gebsrmm_small_blockdim_kernelILi4ELi1ELi4ELi16EdEEv20rocsparse_direction_20rocsparse_operation_iiNS_24const_host_device_scalarIT3_EEPKiS7_PKS4_iiS9_lS5_PS4_l21rocsparse_index_base_b: ; @_ZN9rocsparseL29gebsrmm_small_blockdim_kernelILi4ELi1ELi4ELi16EdEEv20rocsparse_direction_20rocsparse_operation_iiNS_24const_host_device_scalarIT3_EEPKiS7_PKS4_iiS9_lS5_PS4_l21rocsparse_index_base_b
; %bb.0:
	s_load_dwordx2 s[20:21], s[4:5], 0x60
	s_load_dwordx2 s[2:3], s[4:5], 0x10
	s_load_dwordx4 s[8:11], s[4:5], 0x40
	s_waitcnt lgkmcnt(0)
	s_bitcmp1_b32 s21, 0
	s_cselect_b64 s[12:13], -1, 0
	s_xor_b64 s[0:1], s[12:13], -1
	s_and_b64 vcc, exec, s[12:13]
	v_pk_mov_b32 v[4:5], s[2:3], s[2:3] op_sel:[0,1]
	s_cbranch_vccnz .LBB21_2
; %bb.1:
	v_pk_mov_b32 v[2:3], s[2:3], s[2:3] op_sel:[0,1]
	flat_load_dwordx2 v[4:5], v[2:3]
.LBB21_2:
	s_andn2_b64 vcc, exec, s[0:1]
	v_pk_mov_b32 v[2:3], s[10:11], s[10:11] op_sel:[0,1]
	s_cbranch_vccnz .LBB21_4
; %bb.3:
	v_pk_mov_b32 v[2:3], s[10:11], s[10:11] op_sel:[0,1]
	flat_load_dwordx2 v[2:3], v[2:3]
.LBB21_4:
	s_waitcnt vmcnt(0) lgkmcnt(0)
	v_cmp_neq_f64_e32 vcc, 0, v[4:5]
	v_cmp_neq_f64_e64 s[0:1], 1.0, v[2:3]
	s_or_b64 s[0:1], vcc, s[0:1]
	s_and_saveexec_b64 s[2:3], s[0:1]
	s_cbranch_execz .LBB21_23
; %bb.5:
	s_load_dwordx4 s[16:19], s[4:5], 0x4
	s_mov_b32 s24, 0
	s_mov_b32 s21, 0
	s_waitcnt lgkmcnt(0)
	s_cmp_lt_i32 s6, s17
	s_cselect_b64 s[22:23], -1, 0
	s_cmp_ge_i32 s6, s17
	s_cbranch_scc1 .LBB21_7
; %bb.6:
	s_load_dwordx2 s[2:3], s[4:5], 0x18
	s_mov_b32 s0, s7
	s_ashr_i32 s7, s6, 31
	s_lshl_b64 s[10:11], s[6:7], 2
	s_mov_b32 s7, s0
	s_waitcnt lgkmcnt(0)
	s_add_u32 s0, s2, s10
	s_addc_u32 s1, s3, s11
	s_load_dwordx2 s[0:1], s[0:1], 0x0
	s_waitcnt lgkmcnt(0)
	s_sub_i32 s24, s0, s20
	s_sub_i32 s21, s1, s20
.LBB21_7:
	s_load_dwordx2 s[10:11], s[4:5], 0x50
	v_bfe_u32 v8, v0, 10, 10
	v_and_b32_e32 v14, 0x3ff, v0
	v_lshl_add_u32 v0, s7, 4, v8
	v_ashrrev_i32_e32 v1, 31, v0
	v_cmp_gt_i32_e64 s[0:1], s18, v0
	v_cmp_gt_u32_e64 s[2:3], 4, v14
	s_cmp_ge_i32 s24, s21
	v_pk_mov_b32 v[6:7], 0, 0
	s_cbranch_scc1 .LBB21_18
; %bb.8:
	s_load_dwordx4 s[12:15], s[4:5], 0x20
	s_load_dwordx2 s[28:29], s[4:5], 0x38
	v_cmp_eq_u32_e32 vcc, 0, v14
	s_and_b64 s[18:19], vcc, s[0:1]
	v_cmp_eq_u32_e32 vcc, 0, v8
	v_lshlrev_b64 v[6:7], 3, v[0:1]
	s_and_b64 s[26:27], s[2:3], vcc
	s_waitcnt lgkmcnt(0)
	v_mov_b32_e32 v9, s29
	v_add_co_u32_e32 v15, vcc, s28, v6
	v_addc_co_u32_e32 v16, vcc, v9, v7, vcc
	v_mul_lo_u32 v10, v1, s8
	v_mul_lo_u32 v11, v0, s9
	v_mad_u64_u32 v[6:7], s[30:31], v0, s8, 0
	v_add3_u32 v7, v7, v11, v10
	s_cmpk_lg_i32 s16, 0x6f
	s_cselect_b64 s[16:17], -1, 0
	v_lshlrev_b64 v[6:7], 3, v[6:7]
	s_ashr_i32 s25, s24, 31
	v_lshlrev_b32_e32 v10, 2, v8
	v_add_co_u32_e32 v18, vcc, s28, v6
	s_lshl_b64 s[28:29], s[24:25], 2
	v_add_lshl_u32 v17, v10, v14, 3
	v_mov_b32_e32 v6, 0x200
	s_add_u32 s12, s12, s28
	v_pk_mov_b32 v[10:11], 0, 0
	v_addc_co_u32_e32 v19, vcc, v9, v7, vcc
	v_add_u32_e32 v20, 0x200, v17
	v_lshl_add_u32 v21, v14, 3, v6
	v_lshlrev_b32_e32 v22, 5, v8
	s_addc_u32 s13, s13, s29
	v_lshl_add_u32 v8, s24, 2, v14
	v_pk_mov_b32 v[6:7], v[10:11], v[10:11] op_sel:[0,1]
	s_branch .LBB21_10
.LBB21_9:                               ;   in Loop: Header=BB21_10 Depth=1
	s_or_b64 exec, exec, s[28:29]
	s_waitcnt lgkmcnt(0)
	; wave barrier
	s_waitcnt lgkmcnt(0)
	ds_read_b64 v[12:13], v21
	ds_read_b64 v[24:25], v22
	s_add_i32 s24, s24, 1
	s_add_u32 s12, s12, 4
	s_addc_u32 s13, s13, 0
	s_cmp_ge_i32 s24, s21
	s_waitcnt lgkmcnt(0)
	v_fmac_f64_e32 v[6:7], v[12:13], v[24:25]
	v_add_u32_e32 v8, 4, v8
	s_waitcnt lgkmcnt(0)
	; wave barrier
	s_cbranch_scc1 .LBB21_18
.LBB21_10:                              ; =>This Inner Loop Header: Depth=1
	v_pk_mov_b32 v[12:13], v[10:11], v[10:11] op_sel:[0,1]
	s_and_saveexec_b64 s[28:29], s[18:19]
	s_cbranch_execz .LBB21_16
; %bb.11:                               ;   in Loop: Header=BB21_10 Depth=1
	s_load_dword s7, s[12:13], 0x0
	s_and_b64 vcc, exec, s[16:17]
	s_waitcnt lgkmcnt(0)
	s_sub_i32 s30, s7, s20
	s_ashr_i32 s31, s30, 31
	s_cbranch_vccz .LBB21_13
; %bb.12:                               ;   in Loop: Header=BB21_10 Depth=1
	s_mul_i32 s7, s30, s9
	s_mul_hi_u32 s25, s30, s8
	s_add_i32 s7, s25, s7
	s_mul_i32 s25, s31, s8
	s_add_i32 s35, s7, s25
	s_mul_i32 s34, s30, s8
	s_lshl_b64 s[34:35], s[34:35], 3
	v_mov_b32_e32 v9, s35
	v_add_co_u32_e32 v12, vcc, s34, v15
	v_addc_co_u32_e32 v13, vcc, v16, v9, vcc
	s_cbranch_execz .LBB21_14
	s_branch .LBB21_15
.LBB21_13:                              ;   in Loop: Header=BB21_10 Depth=1
                                        ; implicit-def: $vgpr12_vgpr13
.LBB21_14:                              ;   in Loop: Header=BB21_10 Depth=1
	s_lshl_b64 s[30:31], s[30:31], 3
	v_mov_b32_e32 v9, s31
	v_add_co_u32_e32 v12, vcc, s30, v18
	v_addc_co_u32_e32 v13, vcc, v19, v9, vcc
.LBB21_15:                              ;   in Loop: Header=BB21_10 Depth=1
	global_load_dwordx2 v[12:13], v[12:13], off
.LBB21_16:                              ;   in Loop: Header=BB21_10 Depth=1
	s_or_b64 exec, exec, s[28:29]
	s_waitcnt vmcnt(0)
	ds_write_b64 v17, v[12:13]
	s_and_saveexec_b64 s[28:29], s[26:27]
	s_cbranch_execz .LBB21_9
; %bb.17:                               ;   in Loop: Header=BB21_10 Depth=1
	v_ashrrev_i32_e32 v9, 31, v8
	v_lshlrev_b64 v[12:13], 3, v[8:9]
	v_mov_b32_e32 v9, s15
	v_add_co_u32_e32 v12, vcc, s14, v12
	v_addc_co_u32_e32 v13, vcc, v9, v13, vcc
	global_load_dwordx2 v[12:13], v[12:13], off
	s_waitcnt vmcnt(0)
	ds_write_b64 v20, v[12:13]
	s_branch .LBB21_9
.LBB21_18:
	s_and_b64 s[0:1], s[2:3], s[0:1]
	s_and_b64 s[0:1], s[22:23], s[0:1]
	s_and_b64 exec, exec, s[0:1]
	s_cbranch_execz .LBB21_23
; %bb.19:
	s_load_dwordx2 s[0:1], s[4:5], 0x58
	v_lshl_add_u32 v8, s6, 2, v14
	v_cmp_neq_f64_e32 vcc, 0, v[2:3]
	s_waitcnt lgkmcnt(0)
	v_mul_lo_u32 v1, v1, s0
	v_mul_lo_u32 v9, v0, s1
	v_mad_u64_u32 v[10:11], s[0:1], v0, s0, 0
	v_add3_u32 v11, v11, v9, v1
	v_ashrrev_i32_e32 v9, 31, v8
	v_mul_f64 v[0:1], v[4:5], v[6:7]
	v_lshlrev_b64 v[4:5], 3, v[10:11]
	s_and_saveexec_b64 s[0:1], vcc
	s_xor_b64 s[0:1], exec, s[0:1]
	s_cbranch_execz .LBB21_21
; %bb.20:
	v_mov_b32_e32 v6, s11
	v_add_co_u32_e32 v7, vcc, s10, v4
	v_addc_co_u32_e32 v6, vcc, v6, v5, vcc
	v_lshlrev_b64 v[4:5], 3, v[8:9]
	v_add_co_u32_e32 v4, vcc, v7, v4
	v_addc_co_u32_e32 v5, vcc, v6, v5, vcc
	global_load_dwordx2 v[6:7], v[4:5], off
                                        ; implicit-def: $vgpr8
	s_waitcnt vmcnt(0)
	v_fmac_f64_e32 v[0:1], v[2:3], v[6:7]
	global_store_dwordx2 v[4:5], v[0:1], off
                                        ; implicit-def: $vgpr4_vgpr5
                                        ; implicit-def: $vgpr0_vgpr1
.LBB21_21:
	s_andn2_saveexec_b64 s[0:1], s[0:1]
	s_cbranch_execz .LBB21_23
; %bb.22:
	v_mov_b32_e32 v2, s11
	v_add_co_u32_e32 v4, vcc, s10, v4
	v_addc_co_u32_e32 v5, vcc, v2, v5, vcc
	v_lshlrev_b64 v[2:3], 3, v[8:9]
	v_add_co_u32_e32 v2, vcc, v4, v2
	v_addc_co_u32_e32 v3, vcc, v5, v3, vcc
	global_store_dwordx2 v[2:3], v[0:1], off
.LBB21_23:
	s_endpgm
	.section	.rodata,"a",@progbits
	.p2align	6, 0x0
	.amdhsa_kernel _ZN9rocsparseL29gebsrmm_small_blockdim_kernelILi4ELi1ELi4ELi16EdEEv20rocsparse_direction_20rocsparse_operation_iiNS_24const_host_device_scalarIT3_EEPKiS7_PKS4_iiS9_lS5_PS4_l21rocsparse_index_base_b
		.amdhsa_group_segment_fixed_size 640
		.amdhsa_private_segment_fixed_size 0
		.amdhsa_kernarg_size 104
		.amdhsa_user_sgpr_count 6
		.amdhsa_user_sgpr_private_segment_buffer 1
		.amdhsa_user_sgpr_dispatch_ptr 0
		.amdhsa_user_sgpr_queue_ptr 0
		.amdhsa_user_sgpr_kernarg_segment_ptr 1
		.amdhsa_user_sgpr_dispatch_id 0
		.amdhsa_user_sgpr_flat_scratch_init 0
		.amdhsa_user_sgpr_kernarg_preload_length 0
		.amdhsa_user_sgpr_kernarg_preload_offset 0
		.amdhsa_user_sgpr_private_segment_size 0
		.amdhsa_uses_dynamic_stack 0
		.amdhsa_system_sgpr_private_segment_wavefront_offset 0
		.amdhsa_system_sgpr_workgroup_id_x 1
		.amdhsa_system_sgpr_workgroup_id_y 1
		.amdhsa_system_sgpr_workgroup_id_z 0
		.amdhsa_system_sgpr_workgroup_info 0
		.amdhsa_system_vgpr_workitem_id 1
		.amdhsa_next_free_vgpr 26
		.amdhsa_next_free_sgpr 36
		.amdhsa_accum_offset 28
		.amdhsa_reserve_vcc 1
		.amdhsa_reserve_flat_scratch 0
		.amdhsa_float_round_mode_32 0
		.amdhsa_float_round_mode_16_64 0
		.amdhsa_float_denorm_mode_32 3
		.amdhsa_float_denorm_mode_16_64 3
		.amdhsa_dx10_clamp 1
		.amdhsa_ieee_mode 1
		.amdhsa_fp16_overflow 0
		.amdhsa_tg_split 0
		.amdhsa_exception_fp_ieee_invalid_op 0
		.amdhsa_exception_fp_denorm_src 0
		.amdhsa_exception_fp_ieee_div_zero 0
		.amdhsa_exception_fp_ieee_overflow 0
		.amdhsa_exception_fp_ieee_underflow 0
		.amdhsa_exception_fp_ieee_inexact 0
		.amdhsa_exception_int_div_zero 0
	.end_amdhsa_kernel
	.section	.text._ZN9rocsparseL29gebsrmm_small_blockdim_kernelILi4ELi1ELi4ELi16EdEEv20rocsparse_direction_20rocsparse_operation_iiNS_24const_host_device_scalarIT3_EEPKiS7_PKS4_iiS9_lS5_PS4_l21rocsparse_index_base_b,"axG",@progbits,_ZN9rocsparseL29gebsrmm_small_blockdim_kernelILi4ELi1ELi4ELi16EdEEv20rocsparse_direction_20rocsparse_operation_iiNS_24const_host_device_scalarIT3_EEPKiS7_PKS4_iiS9_lS5_PS4_l21rocsparse_index_base_b,comdat
.Lfunc_end21:
	.size	_ZN9rocsparseL29gebsrmm_small_blockdim_kernelILi4ELi1ELi4ELi16EdEEv20rocsparse_direction_20rocsparse_operation_iiNS_24const_host_device_scalarIT3_EEPKiS7_PKS4_iiS9_lS5_PS4_l21rocsparse_index_base_b, .Lfunc_end21-_ZN9rocsparseL29gebsrmm_small_blockdim_kernelILi4ELi1ELi4ELi16EdEEv20rocsparse_direction_20rocsparse_operation_iiNS_24const_host_device_scalarIT3_EEPKiS7_PKS4_iiS9_lS5_PS4_l21rocsparse_index_base_b
                                        ; -- End function
	.section	.AMDGPU.csdata,"",@progbits
; Kernel info:
; codeLenInByte = 944
; NumSgprs: 40
; NumVgprs: 26
; NumAgprs: 0
; TotalNumVgprs: 26
; ScratchSize: 0
; MemoryBound: 0
; FloatMode: 240
; IeeeMode: 1
; LDSByteSize: 640 bytes/workgroup (compile time only)
; SGPRBlocks: 4
; VGPRBlocks: 3
; NumSGPRsForWavesPerEU: 40
; NumVGPRsForWavesPerEU: 26
; AccumOffset: 28
; Occupancy: 8
; WaveLimiterHint : 1
; COMPUTE_PGM_RSRC2:SCRATCH_EN: 0
; COMPUTE_PGM_RSRC2:USER_SGPR: 6
; COMPUTE_PGM_RSRC2:TRAP_HANDLER: 0
; COMPUTE_PGM_RSRC2:TGID_X_EN: 1
; COMPUTE_PGM_RSRC2:TGID_Y_EN: 1
; COMPUTE_PGM_RSRC2:TGID_Z_EN: 0
; COMPUTE_PGM_RSRC2:TIDIG_COMP_CNT: 1
; COMPUTE_PGM_RSRC3_GFX90A:ACCUM_OFFSET: 6
; COMPUTE_PGM_RSRC3_GFX90A:TG_SPLIT: 0
	.section	.text._ZN9rocsparseL29gebsrmm_small_blockdim_kernelILi4ELi2ELi4ELi16EdEEv20rocsparse_direction_20rocsparse_operation_iiNS_24const_host_device_scalarIT3_EEPKiS7_PKS4_iiS9_lS5_PS4_l21rocsparse_index_base_b,"axG",@progbits,_ZN9rocsparseL29gebsrmm_small_blockdim_kernelILi4ELi2ELi4ELi16EdEEv20rocsparse_direction_20rocsparse_operation_iiNS_24const_host_device_scalarIT3_EEPKiS7_PKS4_iiS9_lS5_PS4_l21rocsparse_index_base_b,comdat
	.globl	_ZN9rocsparseL29gebsrmm_small_blockdim_kernelILi4ELi2ELi4ELi16EdEEv20rocsparse_direction_20rocsparse_operation_iiNS_24const_host_device_scalarIT3_EEPKiS7_PKS4_iiS9_lS5_PS4_l21rocsparse_index_base_b ; -- Begin function _ZN9rocsparseL29gebsrmm_small_blockdim_kernelILi4ELi2ELi4ELi16EdEEv20rocsparse_direction_20rocsparse_operation_iiNS_24const_host_device_scalarIT3_EEPKiS7_PKS4_iiS9_lS5_PS4_l21rocsparse_index_base_b
	.p2align	8
	.type	_ZN9rocsparseL29gebsrmm_small_blockdim_kernelILi4ELi2ELi4ELi16EdEEv20rocsparse_direction_20rocsparse_operation_iiNS_24const_host_device_scalarIT3_EEPKiS7_PKS4_iiS9_lS5_PS4_l21rocsparse_index_base_b,@function
_ZN9rocsparseL29gebsrmm_small_blockdim_kernelILi4ELi2ELi4ELi16EdEEv20rocsparse_direction_20rocsparse_operation_iiNS_24const_host_device_scalarIT3_EEPKiS7_PKS4_iiS9_lS5_PS4_l21rocsparse_index_base_b: ; @_ZN9rocsparseL29gebsrmm_small_blockdim_kernelILi4ELi2ELi4ELi16EdEEv20rocsparse_direction_20rocsparse_operation_iiNS_24const_host_device_scalarIT3_EEPKiS7_PKS4_iiS9_lS5_PS4_l21rocsparse_index_base_b
; %bb.0:
	s_load_dwordx2 s[20:21], s[4:5], 0x60
	s_load_dwordx2 s[2:3], s[4:5], 0x10
	s_load_dwordx4 s[8:11], s[4:5], 0x40
	s_waitcnt lgkmcnt(0)
	s_bitcmp1_b32 s21, 0
	s_cselect_b64 s[12:13], -1, 0
	s_xor_b64 s[0:1], s[12:13], -1
	s_and_b64 vcc, exec, s[12:13]
	v_pk_mov_b32 v[4:5], s[2:3], s[2:3] op_sel:[0,1]
	s_cbranch_vccnz .LBB22_2
; %bb.1:
	v_pk_mov_b32 v[2:3], s[2:3], s[2:3] op_sel:[0,1]
	flat_load_dwordx2 v[4:5], v[2:3]
.LBB22_2:
	s_andn2_b64 vcc, exec, s[0:1]
	v_pk_mov_b32 v[2:3], s[10:11], s[10:11] op_sel:[0,1]
	s_cbranch_vccnz .LBB22_4
; %bb.3:
	v_pk_mov_b32 v[2:3], s[10:11], s[10:11] op_sel:[0,1]
	flat_load_dwordx2 v[2:3], v[2:3]
.LBB22_4:
	s_waitcnt vmcnt(0) lgkmcnt(0)
	v_cmp_neq_f64_e32 vcc, 0, v[4:5]
	v_cmp_neq_f64_e64 s[0:1], 1.0, v[2:3]
	s_or_b64 s[0:1], vcc, s[0:1]
	s_and_saveexec_b64 s[2:3], s[0:1]
	s_cbranch_execz .LBB22_23
; %bb.5:
	s_load_dwordx4 s[16:19], s[4:5], 0x0
	s_mov_b32 s24, 0
	s_mov_b32 s21, 0
	s_waitcnt lgkmcnt(0)
	s_cmp_lt_i32 s6, s18
	s_cselect_b64 s[22:23], -1, 0
	s_cmp_ge_i32 s6, s18
	s_cbranch_scc1 .LBB22_7
; %bb.6:
	s_load_dwordx2 s[2:3], s[4:5], 0x18
	s_mov_b32 s0, s7
	s_ashr_i32 s7, s6, 31
	s_lshl_b64 s[10:11], s[6:7], 2
	s_mov_b32 s7, s0
	s_waitcnt lgkmcnt(0)
	s_add_u32 s0, s2, s10
	s_addc_u32 s1, s3, s11
	s_load_dwordx2 s[0:1], s[0:1], 0x0
	s_waitcnt lgkmcnt(0)
	s_sub_i32 s24, s0, s20
	s_sub_i32 s21, s1, s20
.LBB22_7:
	s_load_dwordx2 s[10:11], s[4:5], 0x50
	v_bfe_u32 v8, v0, 10, 10
	v_and_b32_e32 v14, 0x3ff, v0
	v_lshl_add_u32 v0, s7, 4, v8
	v_ashrrev_i32_e32 v1, 31, v0
	v_cmp_gt_i32_e64 s[0:1], s19, v0
	v_cmp_gt_u32_e64 s[2:3], 4, v14
	s_cmp_ge_i32 s24, s21
	v_pk_mov_b32 v[6:7], 0, 0
	s_cbranch_scc1 .LBB22_18
; %bb.8:
	s_load_dwordx4 s[12:15], s[4:5], 0x20
	s_load_dwordx2 s[30:31], s[4:5], 0x38
	v_cmp_gt_u32_e32 vcc, 2, v14
	s_and_b64 s[18:19], vcc, s[0:1]
	v_cmp_gt_u32_e32 vcc, 2, v8
	v_lshlrev_b64 v[6:7], 3, v[0:1]
	s_and_b64 s[26:27], s[2:3], vcc
	s_waitcnt lgkmcnt(0)
	v_mov_b32_e32 v9, s31
	v_add_co_u32_e32 v15, vcc, s30, v6
	v_addc_co_u32_e32 v16, vcc, v9, v7, vcc
	v_mul_lo_u32 v10, v1, s8
	v_mul_lo_u32 v11, v0, s9
	v_mad_u64_u32 v[6:7], s[28:29], v0, s8, 0
	v_add3_u32 v7, v7, v11, v10
	v_lshlrev_b64 v[6:7], 3, v[6:7]
	v_add_co_u32_e32 v6, vcc, s30, v6
	v_addc_co_u32_e32 v7, vcc, v9, v7, vcc
	v_lshlrev_b32_e32 v9, 3, v14
	s_cmpk_lg_i32 s17, 0x6f
	v_add_co_u32_e32 v18, vcc, v6, v9
	s_cselect_b64 s[28:29], -1, 0
	v_addc_co_u32_e32 v19, vcc, 0, v7, vcc
	s_cmp_eq_u32 s16, 0
	s_cselect_b64 vcc, -1, 0
	s_ashr_i32 s25, s24, 31
	s_lshl_b64 s[16:17], s[24:25], 2
	v_lshlrev_b32_e32 v10, 2, v8
	v_lshlrev_b32_e32 v6, 1, v14
	s_add_u32 s12, s12, s16
	v_add_lshl_u32 v17, v10, v14, 3
	v_cndmask_b32_e32 v6, v10, v6, vcc
	v_cndmask_b32_e32 v7, v14, v8, vcc
	s_addc_u32 s13, s13, s17
	s_lshl_b32 s7, s24, 3
	v_pk_mov_b32 v[10:11], 0, 0
	v_add_u32_e32 v20, 0x200, v17
	v_add_u32_e32 v21, 0x200, v9
	v_lshlrev_b32_e32 v22, 5, v8
	v_add3_u32 v8, v7, v6, s7
	v_pk_mov_b32 v[6:7], v[10:11], v[10:11] op_sel:[0,1]
	s_branch .LBB22_10
.LBB22_9:                               ;   in Loop: Header=BB22_10 Depth=1
	s_or_b64 exec, exec, s[16:17]
	s_waitcnt lgkmcnt(0)
	; wave barrier
	s_waitcnt lgkmcnt(0)
	ds_read_b128 v[24:27], v22
	ds_read2_b64 v[28:31], v21 offset1:4
	s_add_i32 s24, s24, 1
	s_add_u32 s12, s12, 4
	s_addc_u32 s13, s13, 0
	s_cmp_ge_i32 s24, s21
	s_waitcnt lgkmcnt(0)
	v_fmac_f64_e32 v[6:7], v[28:29], v[24:25]
	v_fmac_f64_e32 v[6:7], v[30:31], v[26:27]
	v_add_u32_e32 v8, 8, v8
	s_waitcnt lgkmcnt(0)
	; wave barrier
	s_cbranch_scc1 .LBB22_18
.LBB22_10:                              ; =>This Inner Loop Header: Depth=1
	v_pk_mov_b32 v[12:13], v[10:11], v[10:11] op_sel:[0,1]
	s_and_saveexec_b64 s[16:17], s[18:19]
	s_cbranch_execz .LBB22_16
; %bb.11:                               ;   in Loop: Header=BB22_10 Depth=1
	s_load_dword s7, s[12:13], 0x0
	s_and_b64 vcc, exec, s[28:29]
	s_waitcnt lgkmcnt(0)
	s_sub_i32 s7, s7, s20
	s_lshl_b32 s30, s7, 1
	s_cbranch_vccz .LBB22_13
; %bb.12:                               ;   in Loop: Header=BB22_10 Depth=1
	v_or_b32_e32 v9, s30, v14
	s_ashr_i32 s7, s30, 31
	v_mul_lo_u32 v23, v9, s9
	s_mul_i32 s7, s7, s8
	v_mad_u64_u32 v[12:13], s[34:35], v9, s8, 0
	v_add3_u32 v13, v13, v23, s7
	v_lshlrev_b64 v[12:13], 3, v[12:13]
	v_add_co_u32_e32 v12, vcc, v15, v12
	v_addc_co_u32_e32 v13, vcc, v16, v13, vcc
	s_cbranch_execz .LBB22_14
	s_branch .LBB22_15
.LBB22_13:                              ;   in Loop: Header=BB22_10 Depth=1
                                        ; implicit-def: $vgpr12_vgpr13
.LBB22_14:                              ;   in Loop: Header=BB22_10 Depth=1
	s_ashr_i32 s31, s30, 31
	s_lshl_b64 s[30:31], s[30:31], 3
	v_mov_b32_e32 v9, s31
	v_add_co_u32_e32 v12, vcc, s30, v18
	v_addc_co_u32_e32 v13, vcc, v19, v9, vcc
.LBB22_15:                              ;   in Loop: Header=BB22_10 Depth=1
	global_load_dwordx2 v[12:13], v[12:13], off
.LBB22_16:                              ;   in Loop: Header=BB22_10 Depth=1
	s_or_b64 exec, exec, s[16:17]
	s_waitcnt vmcnt(0)
	ds_write_b64 v17, v[12:13]
	s_and_saveexec_b64 s[16:17], s[26:27]
	s_cbranch_execz .LBB22_9
; %bb.17:                               ;   in Loop: Header=BB22_10 Depth=1
	v_ashrrev_i32_e32 v9, 31, v8
	v_lshlrev_b64 v[12:13], 3, v[8:9]
	v_mov_b32_e32 v9, s15
	v_add_co_u32_e32 v12, vcc, s14, v12
	v_addc_co_u32_e32 v13, vcc, v9, v13, vcc
	global_load_dwordx2 v[12:13], v[12:13], off
	s_waitcnt vmcnt(0)
	ds_write_b64 v20, v[12:13]
	s_branch .LBB22_9
.LBB22_18:
	s_and_b64 s[0:1], s[2:3], s[0:1]
	s_and_b64 s[0:1], s[22:23], s[0:1]
	s_and_b64 exec, exec, s[0:1]
	s_cbranch_execz .LBB22_23
; %bb.19:
	s_load_dwordx2 s[0:1], s[4:5], 0x58
	v_lshl_add_u32 v8, s6, 2, v14
	v_cmp_neq_f64_e32 vcc, 0, v[2:3]
	s_waitcnt lgkmcnt(0)
	v_mul_lo_u32 v1, v1, s0
	v_mul_lo_u32 v9, v0, s1
	v_mad_u64_u32 v[10:11], s[0:1], v0, s0, 0
	v_add3_u32 v11, v11, v9, v1
	v_ashrrev_i32_e32 v9, 31, v8
	v_mul_f64 v[0:1], v[4:5], v[6:7]
	v_lshlrev_b64 v[4:5], 3, v[10:11]
	s_and_saveexec_b64 s[0:1], vcc
	s_xor_b64 s[0:1], exec, s[0:1]
	s_cbranch_execz .LBB22_21
; %bb.20:
	v_mov_b32_e32 v6, s11
	v_add_co_u32_e32 v7, vcc, s10, v4
	v_addc_co_u32_e32 v6, vcc, v6, v5, vcc
	v_lshlrev_b64 v[4:5], 3, v[8:9]
	v_add_co_u32_e32 v4, vcc, v7, v4
	v_addc_co_u32_e32 v5, vcc, v6, v5, vcc
	global_load_dwordx2 v[6:7], v[4:5], off
                                        ; implicit-def: $vgpr8
	s_waitcnt vmcnt(0)
	v_fmac_f64_e32 v[0:1], v[2:3], v[6:7]
	global_store_dwordx2 v[4:5], v[0:1], off
                                        ; implicit-def: $vgpr4_vgpr5
                                        ; implicit-def: $vgpr0_vgpr1
.LBB22_21:
	s_andn2_saveexec_b64 s[0:1], s[0:1]
	s_cbranch_execz .LBB22_23
; %bb.22:
	v_mov_b32_e32 v2, s11
	v_add_co_u32_e32 v4, vcc, s10, v4
	v_addc_co_u32_e32 v5, vcc, v2, v5, vcc
	v_lshlrev_b64 v[2:3], 3, v[8:9]
	v_add_co_u32_e32 v2, vcc, v4, v2
	v_addc_co_u32_e32 v3, vcc, v5, v3, vcc
	global_store_dwordx2 v[2:3], v[0:1], off
.LBB22_23:
	s_endpgm
	.section	.rodata,"a",@progbits
	.p2align	6, 0x0
	.amdhsa_kernel _ZN9rocsparseL29gebsrmm_small_blockdim_kernelILi4ELi2ELi4ELi16EdEEv20rocsparse_direction_20rocsparse_operation_iiNS_24const_host_device_scalarIT3_EEPKiS7_PKS4_iiS9_lS5_PS4_l21rocsparse_index_base_b
		.amdhsa_group_segment_fixed_size 640
		.amdhsa_private_segment_fixed_size 0
		.amdhsa_kernarg_size 104
		.amdhsa_user_sgpr_count 6
		.amdhsa_user_sgpr_private_segment_buffer 1
		.amdhsa_user_sgpr_dispatch_ptr 0
		.amdhsa_user_sgpr_queue_ptr 0
		.amdhsa_user_sgpr_kernarg_segment_ptr 1
		.amdhsa_user_sgpr_dispatch_id 0
		.amdhsa_user_sgpr_flat_scratch_init 0
		.amdhsa_user_sgpr_kernarg_preload_length 0
		.amdhsa_user_sgpr_kernarg_preload_offset 0
		.amdhsa_user_sgpr_private_segment_size 0
		.amdhsa_uses_dynamic_stack 0
		.amdhsa_system_sgpr_private_segment_wavefront_offset 0
		.amdhsa_system_sgpr_workgroup_id_x 1
		.amdhsa_system_sgpr_workgroup_id_y 1
		.amdhsa_system_sgpr_workgroup_id_z 0
		.amdhsa_system_sgpr_workgroup_info 0
		.amdhsa_system_vgpr_workitem_id 1
		.amdhsa_next_free_vgpr 32
		.amdhsa_next_free_sgpr 36
		.amdhsa_accum_offset 32
		.amdhsa_reserve_vcc 1
		.amdhsa_reserve_flat_scratch 0
		.amdhsa_float_round_mode_32 0
		.amdhsa_float_round_mode_16_64 0
		.amdhsa_float_denorm_mode_32 3
		.amdhsa_float_denorm_mode_16_64 3
		.amdhsa_dx10_clamp 1
		.amdhsa_ieee_mode 1
		.amdhsa_fp16_overflow 0
		.amdhsa_tg_split 0
		.amdhsa_exception_fp_ieee_invalid_op 0
		.amdhsa_exception_fp_denorm_src 0
		.amdhsa_exception_fp_ieee_div_zero 0
		.amdhsa_exception_fp_ieee_overflow 0
		.amdhsa_exception_fp_ieee_underflow 0
		.amdhsa_exception_fp_ieee_inexact 0
		.amdhsa_exception_int_div_zero 0
	.end_amdhsa_kernel
	.section	.text._ZN9rocsparseL29gebsrmm_small_blockdim_kernelILi4ELi2ELi4ELi16EdEEv20rocsparse_direction_20rocsparse_operation_iiNS_24const_host_device_scalarIT3_EEPKiS7_PKS4_iiS9_lS5_PS4_l21rocsparse_index_base_b,"axG",@progbits,_ZN9rocsparseL29gebsrmm_small_blockdim_kernelILi4ELi2ELi4ELi16EdEEv20rocsparse_direction_20rocsparse_operation_iiNS_24const_host_device_scalarIT3_EEPKiS7_PKS4_iiS9_lS5_PS4_l21rocsparse_index_base_b,comdat
.Lfunc_end22:
	.size	_ZN9rocsparseL29gebsrmm_small_blockdim_kernelILi4ELi2ELi4ELi16EdEEv20rocsparse_direction_20rocsparse_operation_iiNS_24const_host_device_scalarIT3_EEPKiS7_PKS4_iiS9_lS5_PS4_l21rocsparse_index_base_b, .Lfunc_end22-_ZN9rocsparseL29gebsrmm_small_blockdim_kernelILi4ELi2ELi4ELi16EdEEv20rocsparse_direction_20rocsparse_operation_iiNS_24const_host_device_scalarIT3_EEPKiS7_PKS4_iiS9_lS5_PS4_l21rocsparse_index_base_b
                                        ; -- End function
	.section	.AMDGPU.csdata,"",@progbits
; Kernel info:
; codeLenInByte = 992
; NumSgprs: 40
; NumVgprs: 32
; NumAgprs: 0
; TotalNumVgprs: 32
; ScratchSize: 0
; MemoryBound: 0
; FloatMode: 240
; IeeeMode: 1
; LDSByteSize: 640 bytes/workgroup (compile time only)
; SGPRBlocks: 4
; VGPRBlocks: 3
; NumSGPRsForWavesPerEU: 40
; NumVGPRsForWavesPerEU: 32
; AccumOffset: 32
; Occupancy: 8
; WaveLimiterHint : 1
; COMPUTE_PGM_RSRC2:SCRATCH_EN: 0
; COMPUTE_PGM_RSRC2:USER_SGPR: 6
; COMPUTE_PGM_RSRC2:TRAP_HANDLER: 0
; COMPUTE_PGM_RSRC2:TGID_X_EN: 1
; COMPUTE_PGM_RSRC2:TGID_Y_EN: 1
; COMPUTE_PGM_RSRC2:TGID_Z_EN: 0
; COMPUTE_PGM_RSRC2:TIDIG_COMP_CNT: 1
; COMPUTE_PGM_RSRC3_GFX90A:ACCUM_OFFSET: 7
; COMPUTE_PGM_RSRC3_GFX90A:TG_SPLIT: 0
	.section	.text._ZN9rocsparseL29gebsrmm_small_blockdim_kernelILi4ELi3ELi4ELi16EdEEv20rocsparse_direction_20rocsparse_operation_iiNS_24const_host_device_scalarIT3_EEPKiS7_PKS4_iiS9_lS5_PS4_l21rocsparse_index_base_b,"axG",@progbits,_ZN9rocsparseL29gebsrmm_small_blockdim_kernelILi4ELi3ELi4ELi16EdEEv20rocsparse_direction_20rocsparse_operation_iiNS_24const_host_device_scalarIT3_EEPKiS7_PKS4_iiS9_lS5_PS4_l21rocsparse_index_base_b,comdat
	.globl	_ZN9rocsparseL29gebsrmm_small_blockdim_kernelILi4ELi3ELi4ELi16EdEEv20rocsparse_direction_20rocsparse_operation_iiNS_24const_host_device_scalarIT3_EEPKiS7_PKS4_iiS9_lS5_PS4_l21rocsparse_index_base_b ; -- Begin function _ZN9rocsparseL29gebsrmm_small_blockdim_kernelILi4ELi3ELi4ELi16EdEEv20rocsparse_direction_20rocsparse_operation_iiNS_24const_host_device_scalarIT3_EEPKiS7_PKS4_iiS9_lS5_PS4_l21rocsparse_index_base_b
	.p2align	8
	.type	_ZN9rocsparseL29gebsrmm_small_blockdim_kernelILi4ELi3ELi4ELi16EdEEv20rocsparse_direction_20rocsparse_operation_iiNS_24const_host_device_scalarIT3_EEPKiS7_PKS4_iiS9_lS5_PS4_l21rocsparse_index_base_b,@function
_ZN9rocsparseL29gebsrmm_small_blockdim_kernelILi4ELi3ELi4ELi16EdEEv20rocsparse_direction_20rocsparse_operation_iiNS_24const_host_device_scalarIT3_EEPKiS7_PKS4_iiS9_lS5_PS4_l21rocsparse_index_base_b: ; @_ZN9rocsparseL29gebsrmm_small_blockdim_kernelILi4ELi3ELi4ELi16EdEEv20rocsparse_direction_20rocsparse_operation_iiNS_24const_host_device_scalarIT3_EEPKiS7_PKS4_iiS9_lS5_PS4_l21rocsparse_index_base_b
; %bb.0:
	s_load_dwordx2 s[20:21], s[4:5], 0x60
	s_load_dwordx2 s[2:3], s[4:5], 0x10
	s_load_dwordx4 s[12:15], s[4:5], 0x40
	s_waitcnt lgkmcnt(0)
	s_bitcmp1_b32 s21, 0
	s_cselect_b64 s[8:9], -1, 0
	s_xor_b64 s[0:1], s[8:9], -1
	s_and_b64 vcc, exec, s[8:9]
	v_pk_mov_b32 v[4:5], s[2:3], s[2:3] op_sel:[0,1]
	s_cbranch_vccnz .LBB23_2
; %bb.1:
	v_pk_mov_b32 v[2:3], s[2:3], s[2:3] op_sel:[0,1]
	flat_load_dwordx2 v[4:5], v[2:3]
.LBB23_2:
	s_andn2_b64 vcc, exec, s[0:1]
	v_pk_mov_b32 v[2:3], s[14:15], s[14:15] op_sel:[0,1]
	s_cbranch_vccnz .LBB23_4
; %bb.3:
	v_pk_mov_b32 v[2:3], s[14:15], s[14:15] op_sel:[0,1]
	flat_load_dwordx2 v[2:3], v[2:3]
.LBB23_4:
	s_waitcnt vmcnt(0) lgkmcnt(0)
	v_cmp_neq_f64_e32 vcc, 0, v[4:5]
	v_cmp_neq_f64_e64 s[0:1], 1.0, v[2:3]
	s_or_b64 s[0:1], vcc, s[0:1]
	s_and_saveexec_b64 s[2:3], s[0:1]
	s_cbranch_execz .LBB23_23
; %bb.5:
	s_load_dwordx4 s[8:11], s[4:5], 0x0
	s_mov_b32 s24, 0
	s_mov_b32 s21, 0
	s_waitcnt lgkmcnt(0)
	s_cmp_lt_i32 s6, s10
	s_cselect_b64 s[22:23], -1, 0
	s_cmp_ge_i32 s6, s10
	s_cbranch_scc1 .LBB23_7
; %bb.6:
	s_load_dwordx2 s[2:3], s[4:5], 0x18
	s_mov_b32 s0, s7
	s_ashr_i32 s7, s6, 31
	s_lshl_b64 s[14:15], s[6:7], 2
	s_mov_b32 s7, s0
	s_waitcnt lgkmcnt(0)
	s_add_u32 s0, s2, s14
	s_addc_u32 s1, s3, s15
	s_load_dwordx2 s[0:1], s[0:1], 0x0
	s_waitcnt lgkmcnt(0)
	s_sub_i32 s24, s0, s20
	s_sub_i32 s21, s1, s20
.LBB23_7:
	s_load_dwordx2 s[14:15], s[4:5], 0x50
	v_bfe_u32 v8, v0, 10, 10
	v_and_b32_e32 v12, 0x3ff, v0
	v_lshl_add_u32 v0, s7, 4, v8
	v_ashrrev_i32_e32 v1, 31, v0
	v_cmp_gt_i32_e64 s[0:1], s11, v0
	v_cmp_gt_u32_e64 s[2:3], 4, v12
	s_cmp_ge_i32 s24, s21
	v_pk_mov_b32 v[6:7], 0, 0
	s_cbranch_scc1 .LBB23_18
; %bb.8:
	s_load_dwordx4 s[16:19], s[4:5], 0x20
	s_load_dwordx2 s[30:31], s[4:5], 0x38
	v_cmp_gt_u32_e32 vcc, 3, v12
	s_and_b64 s[10:11], vcc, s[0:1]
	v_cmp_gt_u32_e32 vcc, 3, v8
	v_lshlrev_b64 v[6:7], 3, v[0:1]
	s_and_b64 s[26:27], s[2:3], vcc
	s_waitcnt lgkmcnt(0)
	v_mov_b32_e32 v10, s31
	v_add_co_u32_e32 v13, vcc, s30, v6
	v_addc_co_u32_e32 v14, vcc, v10, v7, vcc
	v_mul_lo_u32 v11, v1, s12
	v_mul_lo_u32 v15, v0, s13
	v_mad_u64_u32 v[6:7], s[28:29], v0, s12, 0
	v_add3_u32 v7, v7, v15, v11
	s_cmpk_lg_i32 s9, 0x6f
	v_lshlrev_b64 v[6:7], 3, v[6:7]
	s_cselect_b64 s[28:29], -1, 0
	v_add_co_u32_e32 v6, vcc, s30, v6
	s_cmp_eq_u32 s8, 0
	v_addc_co_u32_e32 v7, vcc, v10, v7, vcc
	v_lshlrev_b32_e32 v10, 3, v12
	s_cselect_b64 s[8:9], -1, 0
	s_ashr_i32 s25, s24, 31
	v_lshlrev_b32_e32 v9, 2, v8
	v_add_co_u32_e32 v16, vcc, v6, v10
	v_mul_u32_u24_e32 v6, 3, v12
	s_lshl_b64 s[30:31], s[24:25], 2
	s_mul_i32 s7, s24, 12
	v_add_lshl_u32 v15, v9, v12, 3
	v_lshlrev_b32_e32 v20, 5, v8
	s_add_u32 s16, s16, s30
	v_add3_u32 v21, v12, s7, v9
	v_add3_u32 v22, v6, v8, s7
	v_pk_mov_b32 v[8:9], 0, 0
	v_addc_co_u32_e32 v17, vcc, 0, v7, vcc
	v_add_u32_e32 v18, 0x200, v15
	v_add_u32_e32 v19, 0x200, v10
	s_addc_u32 s17, s17, s31
	v_pk_mov_b32 v[6:7], v[8:9], v[8:9] op_sel:[0,1]
	s_branch .LBB23_10
.LBB23_9:                               ;   in Loop: Header=BB23_10 Depth=1
	s_or_b64 exec, exec, s[30:31]
	s_waitcnt lgkmcnt(0)
	; wave barrier
	s_waitcnt lgkmcnt(0)
	ds_read2_b64 v[24:27], v19 offset1:4
	ds_read_b128 v[28:31], v20
	ds_read_b64 v[10:11], v20 offset:16
	ds_read_b64 v[32:33], v19 offset:64
	s_add_i32 s24, s24, 1
	s_add_u32 s16, s16, 4
	s_waitcnt lgkmcnt(2)
	v_fmac_f64_e32 v[6:7], v[24:25], v[28:29]
	v_fmac_f64_e32 v[6:7], v[26:27], v[30:31]
	s_addc_u32 s17, s17, 0
	s_waitcnt lgkmcnt(0)
	v_fmac_f64_e32 v[6:7], v[32:33], v[10:11]
	v_add_u32_e32 v21, 12, v21
	s_cmp_ge_i32 s24, s21
	v_add_u32_e32 v22, 12, v22
	s_waitcnt lgkmcnt(0)
	; wave barrier
	s_cbranch_scc1 .LBB23_18
.LBB23_10:                              ; =>This Inner Loop Header: Depth=1
	v_pk_mov_b32 v[10:11], v[8:9], v[8:9] op_sel:[0,1]
	s_and_saveexec_b64 s[30:31], s[10:11]
	s_cbranch_execz .LBB23_16
; %bb.11:                               ;   in Loop: Header=BB23_10 Depth=1
	s_load_dword s7, s[16:17], 0x0
	s_and_b64 vcc, exec, s[28:29]
	s_waitcnt lgkmcnt(0)
	s_sub_i32 s7, s7, s20
	s_mul_i32 s34, s7, 3
	s_cbranch_vccz .LBB23_13
; %bb.12:                               ;   in Loop: Header=BB23_10 Depth=1
	v_add_u32_e32 v10, s34, v12
	v_ashrrev_i32_e32 v11, 31, v10
	v_mul_lo_u32 v23, v11, s12
	v_mul_lo_u32 v24, v10, s13
	v_mad_u64_u32 v[10:11], s[36:37], v10, s12, 0
	v_add3_u32 v11, v11, v24, v23
	v_lshlrev_b64 v[10:11], 3, v[10:11]
	v_add_co_u32_e32 v10, vcc, v13, v10
	v_addc_co_u32_e32 v11, vcc, v14, v11, vcc
	s_cbranch_execz .LBB23_14
	s_branch .LBB23_15
.LBB23_13:                              ;   in Loop: Header=BB23_10 Depth=1
                                        ; implicit-def: $vgpr10_vgpr11
.LBB23_14:                              ;   in Loop: Header=BB23_10 Depth=1
	s_ashr_i32 s35, s34, 31
	s_lshl_b64 s[34:35], s[34:35], 3
	v_mov_b32_e32 v11, s35
	v_add_co_u32_e32 v10, vcc, s34, v16
	v_addc_co_u32_e32 v11, vcc, v17, v11, vcc
.LBB23_15:                              ;   in Loop: Header=BB23_10 Depth=1
	global_load_dwordx2 v[10:11], v[10:11], off
.LBB23_16:                              ;   in Loop: Header=BB23_10 Depth=1
	s_or_b64 exec, exec, s[30:31]
	s_waitcnt vmcnt(0)
	ds_write_b64 v15, v[10:11]
	s_and_saveexec_b64 s[30:31], s[26:27]
	s_cbranch_execz .LBB23_9
; %bb.17:                               ;   in Loop: Header=BB23_10 Depth=1
	v_cndmask_b32_e64 v10, v21, v22, s[8:9]
	v_ashrrev_i32_e32 v11, 31, v10
	v_lshlrev_b64 v[10:11], 3, v[10:11]
	v_mov_b32_e32 v23, s19
	v_add_co_u32_e32 v10, vcc, s18, v10
	v_addc_co_u32_e32 v11, vcc, v23, v11, vcc
	global_load_dwordx2 v[10:11], v[10:11], off
	s_waitcnt vmcnt(0)
	ds_write_b64 v18, v[10:11]
	s_branch .LBB23_9
.LBB23_18:
	s_and_b64 s[0:1], s[2:3], s[0:1]
	s_and_b64 s[0:1], s[22:23], s[0:1]
	s_and_b64 exec, exec, s[0:1]
	s_cbranch_execz .LBB23_23
; %bb.19:
	s_load_dwordx2 s[0:1], s[4:5], 0x58
	v_lshl_add_u32 v8, s6, 2, v12
	v_cmp_neq_f64_e32 vcc, 0, v[2:3]
	s_waitcnt lgkmcnt(0)
	v_mul_lo_u32 v1, v1, s0
	v_mul_lo_u32 v9, v0, s1
	v_mad_u64_u32 v[10:11], s[0:1], v0, s0, 0
	v_add3_u32 v11, v11, v9, v1
	v_ashrrev_i32_e32 v9, 31, v8
	v_mul_f64 v[0:1], v[4:5], v[6:7]
	v_lshlrev_b64 v[4:5], 3, v[10:11]
	s_and_saveexec_b64 s[0:1], vcc
	s_xor_b64 s[0:1], exec, s[0:1]
	s_cbranch_execz .LBB23_21
; %bb.20:
	v_mov_b32_e32 v6, s15
	v_add_co_u32_e32 v7, vcc, s14, v4
	v_addc_co_u32_e32 v6, vcc, v6, v5, vcc
	v_lshlrev_b64 v[4:5], 3, v[8:9]
	v_add_co_u32_e32 v4, vcc, v7, v4
	v_addc_co_u32_e32 v5, vcc, v6, v5, vcc
	global_load_dwordx2 v[6:7], v[4:5], off
                                        ; implicit-def: $vgpr8
	s_waitcnt vmcnt(0)
	v_fmac_f64_e32 v[0:1], v[2:3], v[6:7]
	global_store_dwordx2 v[4:5], v[0:1], off
                                        ; implicit-def: $vgpr4_vgpr5
                                        ; implicit-def: $vgpr0_vgpr1
.LBB23_21:
	s_andn2_saveexec_b64 s[0:1], s[0:1]
	s_cbranch_execz .LBB23_23
; %bb.22:
	v_mov_b32_e32 v2, s15
	v_add_co_u32_e32 v4, vcc, s14, v4
	v_addc_co_u32_e32 v5, vcc, v2, v5, vcc
	v_lshlrev_b64 v[2:3], 3, v[8:9]
	v_add_co_u32_e32 v2, vcc, v4, v2
	v_addc_co_u32_e32 v3, vcc, v5, v3, vcc
	global_store_dwordx2 v[2:3], v[0:1], off
.LBB23_23:
	s_endpgm
	.section	.rodata,"a",@progbits
	.p2align	6, 0x0
	.amdhsa_kernel _ZN9rocsparseL29gebsrmm_small_blockdim_kernelILi4ELi3ELi4ELi16EdEEv20rocsparse_direction_20rocsparse_operation_iiNS_24const_host_device_scalarIT3_EEPKiS7_PKS4_iiS9_lS5_PS4_l21rocsparse_index_base_b
		.amdhsa_group_segment_fixed_size 640
		.amdhsa_private_segment_fixed_size 0
		.amdhsa_kernarg_size 104
		.amdhsa_user_sgpr_count 6
		.amdhsa_user_sgpr_private_segment_buffer 1
		.amdhsa_user_sgpr_dispatch_ptr 0
		.amdhsa_user_sgpr_queue_ptr 0
		.amdhsa_user_sgpr_kernarg_segment_ptr 1
		.amdhsa_user_sgpr_dispatch_id 0
		.amdhsa_user_sgpr_flat_scratch_init 0
		.amdhsa_user_sgpr_kernarg_preload_length 0
		.amdhsa_user_sgpr_kernarg_preload_offset 0
		.amdhsa_user_sgpr_private_segment_size 0
		.amdhsa_uses_dynamic_stack 0
		.amdhsa_system_sgpr_private_segment_wavefront_offset 0
		.amdhsa_system_sgpr_workgroup_id_x 1
		.amdhsa_system_sgpr_workgroup_id_y 1
		.amdhsa_system_sgpr_workgroup_id_z 0
		.amdhsa_system_sgpr_workgroup_info 0
		.amdhsa_system_vgpr_workitem_id 1
		.amdhsa_next_free_vgpr 34
		.amdhsa_next_free_sgpr 38
		.amdhsa_accum_offset 36
		.amdhsa_reserve_vcc 1
		.amdhsa_reserve_flat_scratch 0
		.amdhsa_float_round_mode_32 0
		.amdhsa_float_round_mode_16_64 0
		.amdhsa_float_denorm_mode_32 3
		.amdhsa_float_denorm_mode_16_64 3
		.amdhsa_dx10_clamp 1
		.amdhsa_ieee_mode 1
		.amdhsa_fp16_overflow 0
		.amdhsa_tg_split 0
		.amdhsa_exception_fp_ieee_invalid_op 0
		.amdhsa_exception_fp_denorm_src 0
		.amdhsa_exception_fp_ieee_div_zero 0
		.amdhsa_exception_fp_ieee_overflow 0
		.amdhsa_exception_fp_ieee_underflow 0
		.amdhsa_exception_fp_ieee_inexact 0
		.amdhsa_exception_int_div_zero 0
	.end_amdhsa_kernel
	.section	.text._ZN9rocsparseL29gebsrmm_small_blockdim_kernelILi4ELi3ELi4ELi16EdEEv20rocsparse_direction_20rocsparse_operation_iiNS_24const_host_device_scalarIT3_EEPKiS7_PKS4_iiS9_lS5_PS4_l21rocsparse_index_base_b,"axG",@progbits,_ZN9rocsparseL29gebsrmm_small_blockdim_kernelILi4ELi3ELi4ELi16EdEEv20rocsparse_direction_20rocsparse_operation_iiNS_24const_host_device_scalarIT3_EEPKiS7_PKS4_iiS9_lS5_PS4_l21rocsparse_index_base_b,comdat
.Lfunc_end23:
	.size	_ZN9rocsparseL29gebsrmm_small_blockdim_kernelILi4ELi3ELi4ELi16EdEEv20rocsparse_direction_20rocsparse_operation_iiNS_24const_host_device_scalarIT3_EEPKiS7_PKS4_iiS9_lS5_PS4_l21rocsparse_index_base_b, .Lfunc_end23-_ZN9rocsparseL29gebsrmm_small_blockdim_kernelILi4ELi3ELi4ELi16EdEEv20rocsparse_direction_20rocsparse_operation_iiNS_24const_host_device_scalarIT3_EEPKiS7_PKS4_iiS9_lS5_PS4_l21rocsparse_index_base_b
                                        ; -- End function
	.section	.AMDGPU.csdata,"",@progbits
; Kernel info:
; codeLenInByte = 1032
; NumSgprs: 42
; NumVgprs: 34
; NumAgprs: 0
; TotalNumVgprs: 34
; ScratchSize: 0
; MemoryBound: 0
; FloatMode: 240
; IeeeMode: 1
; LDSByteSize: 640 bytes/workgroup (compile time only)
; SGPRBlocks: 5
; VGPRBlocks: 4
; NumSGPRsForWavesPerEU: 42
; NumVGPRsForWavesPerEU: 34
; AccumOffset: 36
; Occupancy: 8
; WaveLimiterHint : 1
; COMPUTE_PGM_RSRC2:SCRATCH_EN: 0
; COMPUTE_PGM_RSRC2:USER_SGPR: 6
; COMPUTE_PGM_RSRC2:TRAP_HANDLER: 0
; COMPUTE_PGM_RSRC2:TGID_X_EN: 1
; COMPUTE_PGM_RSRC2:TGID_Y_EN: 1
; COMPUTE_PGM_RSRC2:TGID_Z_EN: 0
; COMPUTE_PGM_RSRC2:TIDIG_COMP_CNT: 1
; COMPUTE_PGM_RSRC3_GFX90A:ACCUM_OFFSET: 8
; COMPUTE_PGM_RSRC3_GFX90A:TG_SPLIT: 0
	.section	.text._ZN9rocsparseL29gebsrmm_small_blockdim_kernelILi1ELi2ELi2ELi16E21rocsparse_complex_numIfEEEv20rocsparse_direction_20rocsparse_operation_iiNS_24const_host_device_scalarIT3_EEPKiS9_PKS6_iiSB_lS7_PS6_l21rocsparse_index_base_b,"axG",@progbits,_ZN9rocsparseL29gebsrmm_small_blockdim_kernelILi1ELi2ELi2ELi16E21rocsparse_complex_numIfEEEv20rocsparse_direction_20rocsparse_operation_iiNS_24const_host_device_scalarIT3_EEPKiS9_PKS6_iiSB_lS7_PS6_l21rocsparse_index_base_b,comdat
	.globl	_ZN9rocsparseL29gebsrmm_small_blockdim_kernelILi1ELi2ELi2ELi16E21rocsparse_complex_numIfEEEv20rocsparse_direction_20rocsparse_operation_iiNS_24const_host_device_scalarIT3_EEPKiS9_PKS6_iiSB_lS7_PS6_l21rocsparse_index_base_b ; -- Begin function _ZN9rocsparseL29gebsrmm_small_blockdim_kernelILi1ELi2ELi2ELi16E21rocsparse_complex_numIfEEEv20rocsparse_direction_20rocsparse_operation_iiNS_24const_host_device_scalarIT3_EEPKiS9_PKS6_iiSB_lS7_PS6_l21rocsparse_index_base_b
	.p2align	8
	.type	_ZN9rocsparseL29gebsrmm_small_blockdim_kernelILi1ELi2ELi2ELi16E21rocsparse_complex_numIfEEEv20rocsparse_direction_20rocsparse_operation_iiNS_24const_host_device_scalarIT3_EEPKiS9_PKS6_iiSB_lS7_PS6_l21rocsparse_index_base_b,@function
_ZN9rocsparseL29gebsrmm_small_blockdim_kernelILi1ELi2ELi2ELi16E21rocsparse_complex_numIfEEEv20rocsparse_direction_20rocsparse_operation_iiNS_24const_host_device_scalarIT3_EEPKiS9_PKS6_iiSB_lS7_PS6_l21rocsparse_index_base_b: ; @_ZN9rocsparseL29gebsrmm_small_blockdim_kernelILi1ELi2ELi2ELi16E21rocsparse_complex_numIfEEEv20rocsparse_direction_20rocsparse_operation_iiNS_24const_host_device_scalarIT3_EEPKiS9_PKS6_iiSB_lS7_PS6_l21rocsparse_index_base_b
; %bb.0:
	s_load_dwordx2 s[20:21], s[4:5], 0x60
	s_load_dwordx2 s[2:3], s[4:5], 0x10
	s_waitcnt lgkmcnt(0)
	s_bitcmp1_b32 s21, 0
	s_cselect_b64 s[0:1], -1, 0
	s_xor_b64 s[12:13], s[0:1], -1
	s_and_b64 vcc, exec, s[0:1]
	v_mov_b32_e32 v2, s2
	s_cbranch_vccnz .LBB24_2
; %bb.1:
	v_pk_mov_b32 v[2:3], s[2:3], s[2:3] op_sel:[0,1]
	flat_load_dword v2, v[2:3]
.LBB24_2:
	s_load_dwordx4 s[8:11], s[4:5], 0x40
	v_cndmask_b32_e64 v1, 0, 1, s[12:13]
	v_cmp_ne_u32_e64 s[0:1], 1, v1
	s_andn2_b64 vcc, exec, s[12:13]
	v_mov_b32_e32 v3, s3
	s_cbranch_vccz .LBB24_23
; %bb.3:
	s_and_b64 vcc, exec, s[0:1]
	s_waitcnt lgkmcnt(0)
	v_mov_b32_e32 v4, s10
	s_cbranch_vccz .LBB24_24
.LBB24_4:
	s_and_b64 vcc, exec, s[0:1]
	v_mov_b32_e32 v5, s11
	s_cbranch_vccnz .LBB24_6
.LBB24_5:
	v_pk_mov_b32 v[6:7], s[10:11], s[10:11] op_sel:[0,1]
	flat_load_dword v5, v[6:7] offset:4
.LBB24_6:
	s_waitcnt vmcnt(0)
	v_and_b32_e32 v1, 0x7fffffff, v2
	v_cmp_eq_u32_e32 vcc, 0, v1
	v_cmp_eq_f32_e64 s[0:1], 0, v3
	s_and_b64 s[10:11], vcc, s[0:1]
	s_mov_b64 s[0:1], -1
	s_and_saveexec_b64 s[2:3], s[10:11]
	s_cbranch_execz .LBB24_8
; %bb.7:
	s_waitcnt lgkmcnt(0)
	v_and_b32_e32 v1, 0x7fffffff, v5
	v_cmp_neq_f32_e32 vcc, 1.0, v4
	v_cmp_ne_u32_e64 s[0:1], 0, v1
	s_or_b64 s[0:1], vcc, s[0:1]
	s_orn2_b64 s[0:1], s[0:1], exec
.LBB24_8:
	s_or_b64 exec, exec, s[2:3]
	s_and_saveexec_b64 s[2:3], s[0:1]
	s_cbranch_execz .LBB24_30
; %bb.9:
	s_load_dwordx4 s[16:19], s[4:5], 0x4
	s_mov_b32 s24, 0
	s_mov_b32 s21, 0
	s_waitcnt lgkmcnt(0)
	s_cmp_lt_i32 s6, s17
	s_cselect_b64 s[22:23], -1, 0
	s_cmp_ge_i32 s6, s17
	s_cbranch_scc1 .LBB24_11
; %bb.10:
	s_load_dwordx2 s[2:3], s[4:5], 0x18
	s_mov_b32 s0, s7
	s_ashr_i32 s7, s6, 31
	s_lshl_b64 s[10:11], s[6:7], 2
	s_mov_b32 s7, s0
	s_waitcnt lgkmcnt(0)
	s_add_u32 s0, s2, s10
	s_addc_u32 s1, s3, s11
	s_load_dwordx2 s[0:1], s[0:1], 0x0
	s_waitcnt lgkmcnt(0)
	s_sub_i32 s24, s0, s20
	s_sub_i32 s21, s1, s20
.LBB24_11:
	s_load_dwordx2 s[10:11], s[4:5], 0x50
	v_bfe_u32 v8, v0, 10, 10
	v_and_b32_e32 v12, 0x3ff, v0
	v_lshl_add_u32 v6, s7, 4, v8
	v_mov_b32_e32 v1, 0
	v_ashrrev_i32_e32 v7, 31, v6
	v_cmp_gt_i32_e64 s[0:1], s18, v6
	v_cmp_eq_u32_e64 s[2:3], 0, v12
	s_cmp_ge_i32 s24, s21
	v_mov_b32_e32 v0, v1
	s_cbranch_scc1 .LBB24_25
; %bb.12:
	s_load_dwordx4 s[12:15], s[4:5], 0x20
	s_load_dwordx2 s[28:29], s[4:5], 0x38
	v_cmp_lt_u32_e32 vcc, 1, v12
	s_xor_b64 s[18:19], s[0:1], -1
	s_or_b64 s[18:19], vcc, s[18:19]
	v_cmp_gt_u32_e32 vcc, 2, v8
	v_lshlrev_b64 v[0:1], 3, v[6:7]
	s_and_b64 s[26:27], s[2:3], vcc
	s_waitcnt lgkmcnt(0)
	v_mov_b32_e32 v9, s29
	v_add_co_u32_e32 v13, vcc, s28, v0
	v_addc_co_u32_e32 v14, vcc, v9, v1, vcc
	v_mul_lo_u32 v10, v7, s8
	v_mul_lo_u32 v11, v6, s9
	v_mad_u64_u32 v[0:1], s[30:31], v6, s8, 0
	v_add3_u32 v1, v1, v11, v10
	s_cmpk_lg_i32 s16, 0x6f
	v_lshlrev_b64 v[0:1], 3, v[0:1]
	s_cselect_b64 s[16:17], -1, 0
	v_add_co_u32_e32 v0, vcc, s28, v0
	s_ashr_i32 s25, s24, 31
	v_lshlrev_b32_e32 v10, 1, v8
	v_addc_co_u32_e32 v1, vcc, v9, v1, vcc
	v_lshlrev_b32_e32 v9, 3, v12
	s_lshl_b64 s[28:29], s[24:25], 2
	v_add_lshl_u32 v15, v10, v12, 3
	v_add_co_u32_e32 v16, vcc, v0, v9
	s_add_u32 s12, s12, s28
	v_mov_b32_e32 v10, 0
	v_addc_co_u32_e32 v17, vcc, 0, v1, vcc
	v_add_u32_e32 v18, 0x100, v15
	v_add_u32_e32 v19, 0x100, v9
	v_lshlrev_b32_e32 v20, 4, v8
	s_addc_u32 s13, s13, s29
	v_lshl_add_u32 v8, s24, 1, v8
	v_mov_b32_e32 v0, 0
	v_mov_b32_e32 v1, v10
	s_branch .LBB24_14
.LBB24_13:                              ;   in Loop: Header=BB24_14 Depth=1
	s_or_b64 exec, exec, s[28:29]
	s_waitcnt lgkmcnt(0)
	; wave barrier
	s_waitcnt lgkmcnt(0)
	ds_read_b128 v[22:25], v20
	ds_read2_b64 v[26:29], v19 offset1:2
	s_add_i32 s24, s24, 1
	s_add_u32 s12, s12, 4
	s_addc_u32 s13, s13, 0
	s_waitcnt lgkmcnt(1)
	v_mov_b32_e32 v30, v25
	s_waitcnt lgkmcnt(0)
	v_pk_fma_f32 v[0:1], v[26:27], v[22:23], v[0:1] op_sel_hi:[1,0,1]
	v_pk_fma_f32 v[0:1], v[26:27], v[22:23], v[0:1] op_sel:[1,1,0] op_sel_hi:[0,1,1] neg_lo:[1,0,0]
	v_pk_fma_f32 v[0:1], v[28:29], v[24:25], v[0:1] op_sel_hi:[1,0,1]
	v_pk_fma_f32 v[0:1], v[28:29], v[30:31], v[0:1] op_sel:[1,0,0] op_sel_hi:[0,0,1] neg_lo:[1,0,0]
	s_cmp_ge_i32 s24, s21
	v_add_u32_e32 v8, 2, v8
	s_waitcnt lgkmcnt(0)
	; wave barrier
	s_cbranch_scc1 .LBB24_25
.LBB24_14:                              ; =>This Inner Loop Header: Depth=1
	s_and_saveexec_b64 s[28:29], s[18:19]
	s_xor_b64 s[28:29], exec, s[28:29]
	s_cbranch_execz .LBB24_16
; %bb.15:                               ;   in Loop: Header=BB24_14 Depth=1
	v_mov_b32_e32 v11, v10
	ds_write_b64 v15, v[10:11]
.LBB24_16:                              ;   in Loop: Header=BB24_14 Depth=1
	s_andn2_saveexec_b64 s[28:29], s[28:29]
	s_cbranch_execz .LBB24_21
; %bb.17:                               ;   in Loop: Header=BB24_14 Depth=1
	s_load_dword s7, s[12:13], 0x0
	s_mov_b64 s[34:35], -1
	s_and_b64 vcc, exec, s[16:17]
	s_waitcnt lgkmcnt(0)
	s_sub_i32 s7, s7, s20
	s_lshl_b32 s30, s7, 1
	s_cbranch_vccz .LBB24_19
; %bb.18:                               ;   in Loop: Header=BB24_14 Depth=1
	v_or_b32_e32 v9, s30, v12
	s_ashr_i32 s7, s30, 31
	v_mul_lo_u32 v11, v9, s9
	s_mul_i32 s7, s7, s8
	v_mad_u64_u32 v[22:23], s[34:35], v9, s8, 0
	v_add3_u32 v23, v23, v11, s7
	v_lshlrev_b64 v[22:23], 3, v[22:23]
	v_add_co_u32_e32 v22, vcc, v13, v22
	v_addc_co_u32_e32 v23, vcc, v14, v23, vcc
	global_load_dwordx2 v[22:23], v[22:23], off
	s_mov_b64 s[34:35], 0
	s_waitcnt vmcnt(0)
	ds_write_b64 v15, v[22:23]
.LBB24_19:                              ;   in Loop: Header=BB24_14 Depth=1
	s_andn2_b64 vcc, exec, s[34:35]
	s_cbranch_vccnz .LBB24_21
; %bb.20:                               ;   in Loop: Header=BB24_14 Depth=1
	s_ashr_i32 s31, s30, 31
	s_lshl_b64 s[30:31], s[30:31], 3
	v_mov_b32_e32 v9, s31
	v_add_co_u32_e32 v22, vcc, s30, v16
	v_addc_co_u32_e32 v23, vcc, v17, v9, vcc
	global_load_dwordx2 v[22:23], v[22:23], off
	s_waitcnt vmcnt(0)
	ds_write_b64 v15, v[22:23]
.LBB24_21:                              ;   in Loop: Header=BB24_14 Depth=1
	s_or_b64 exec, exec, s[28:29]
	s_and_saveexec_b64 s[28:29], s[26:27]
	s_cbranch_execz .LBB24_13
; %bb.22:                               ;   in Loop: Header=BB24_14 Depth=1
	v_ashrrev_i32_e32 v9, 31, v8
	v_lshlrev_b64 v[22:23], 3, v[8:9]
	v_mov_b32_e32 v9, s15
	v_add_co_u32_e32 v22, vcc, s14, v22
	v_addc_co_u32_e32 v23, vcc, v9, v23, vcc
	global_load_dwordx2 v[22:23], v[22:23], off
	s_waitcnt vmcnt(0)
	ds_write_b64 v18, v[22:23]
	s_branch .LBB24_13
.LBB24_23:
	v_pk_mov_b32 v[4:5], s[2:3], s[2:3] op_sel:[0,1]
	flat_load_dword v3, v[4:5] offset:4
	s_and_b64 vcc, exec, s[0:1]
	s_waitcnt lgkmcnt(0)
	v_mov_b32_e32 v4, s10
	s_cbranch_vccnz .LBB24_4
.LBB24_24:
	v_pk_mov_b32 v[4:5], s[10:11], s[10:11] op_sel:[0,1]
	flat_load_dword v4, v[4:5]
	s_and_b64 vcc, exec, s[0:1]
	v_mov_b32_e32 v5, s11
	s_cbranch_vccz .LBB24_5
	s_branch .LBB24_6
.LBB24_25:
	s_and_b64 s[0:1], s[2:3], s[0:1]
	s_and_b64 s[0:1], s[22:23], s[0:1]
	s_and_b64 exec, exec, s[0:1]
	s_cbranch_execz .LBB24_30
; %bb.26:
	s_load_dwordx2 s[0:1], s[4:5], 0x58
	v_add_u32_e32 v8, s6, v12
	s_waitcnt lgkmcnt(0)
	v_mul_lo_u32 v9, v7, s0
	v_mul_lo_u32 v10, v6, s1
	v_mad_u64_u32 v[6:7], s[0:1], v6, s0, 0
	v_add3_u32 v7, v7, v10, v9
	v_and_b32_e32 v9, 0x7fffffff, v4
	v_cmp_ne_u32_e32 vcc, 0, v9
	v_cmp_neq_f32_e64 s[0:1], 0, v5
	s_or_b64 s[0:1], vcc, s[0:1]
	v_ashrrev_i32_e32 v9, 31, v8
	v_lshlrev_b64 v[6:7], 3, v[6:7]
	s_and_saveexec_b64 s[2:3], s[0:1]
	s_xor_b64 s[0:1], exec, s[2:3]
	s_cbranch_execz .LBB24_28
; %bb.27:
	v_mov_b32_e32 v10, s11
	v_add_co_u32_e32 v11, vcc, s10, v6
	v_addc_co_u32_e32 v10, vcc, v10, v7, vcc
	v_lshlrev_b64 v[6:7], 3, v[8:9]
	v_add_co_u32_e32 v6, vcc, v11, v6
	v_addc_co_u32_e32 v7, vcc, v10, v7, vcc
	global_load_dwordx2 v[8:9], v[6:7], off
	v_xor_b32_e32 v10, 0x80000000, v3
	v_mov_b32_e32 v11, v2
	v_pk_mul_f32 v[10:11], v[0:1], v[10:11] op_sel:[1,0]
	v_pk_fma_f32 v[0:1], v[2:3], v[0:1], v[10:11] op_sel_hi:[1,0,1]
	v_xor_b32_e32 v12, 0x80000000, v5
	v_mov_b32_e32 v13, v4
                                        ; implicit-def: $vgpr3
	s_waitcnt vmcnt(0)
	v_pk_fma_f32 v[0:1], v[4:5], v[8:9], v[0:1] op_sel_hi:[1,0,1]
	v_pk_fma_f32 v[0:1], v[12:13], v[8:9], v[0:1] op_sel:[0,1,0]
	global_store_dwordx2 v[6:7], v[0:1], off
                                        ; implicit-def: $vgpr8
                                        ; implicit-def: $vgpr6_vgpr7
                                        ; implicit-def: $vgpr0_vgpr1
.LBB24_28:
	s_andn2_saveexec_b64 s[0:1], s[0:1]
	s_cbranch_execz .LBB24_30
; %bb.29:
	v_mov_b32_e32 v5, s11
	v_add_co_u32_e32 v10, vcc, s10, v6
	v_addc_co_u32_e32 v5, vcc, v5, v7, vcc
	v_lshlrev_b64 v[6:7], 3, v[8:9]
	v_add_co_u32_e32 v6, vcc, v10, v6
	v_xor_b32_e32 v4, 0x80000000, v3
	v_addc_co_u32_e32 v7, vcc, v5, v7, vcc
	v_mov_b32_e32 v5, v2
	v_pk_mul_f32 v[4:5], v[0:1], v[4:5] op_sel:[1,0]
	v_pk_fma_f32 v[0:1], v[2:3], v[0:1], v[4:5] op_sel_hi:[1,0,1]
	global_store_dwordx2 v[6:7], v[0:1], off
.LBB24_30:
	s_endpgm
	.section	.rodata,"a",@progbits
	.p2align	6, 0x0
	.amdhsa_kernel _ZN9rocsparseL29gebsrmm_small_blockdim_kernelILi1ELi2ELi2ELi16E21rocsparse_complex_numIfEEEv20rocsparse_direction_20rocsparse_operation_iiNS_24const_host_device_scalarIT3_EEPKiS9_PKS6_iiSB_lS7_PS6_l21rocsparse_index_base_b
		.amdhsa_group_segment_fixed_size 288
		.amdhsa_private_segment_fixed_size 0
		.amdhsa_kernarg_size 104
		.amdhsa_user_sgpr_count 6
		.amdhsa_user_sgpr_private_segment_buffer 1
		.amdhsa_user_sgpr_dispatch_ptr 0
		.amdhsa_user_sgpr_queue_ptr 0
		.amdhsa_user_sgpr_kernarg_segment_ptr 1
		.amdhsa_user_sgpr_dispatch_id 0
		.amdhsa_user_sgpr_flat_scratch_init 0
		.amdhsa_user_sgpr_kernarg_preload_length 0
		.amdhsa_user_sgpr_kernarg_preload_offset 0
		.amdhsa_user_sgpr_private_segment_size 0
		.amdhsa_uses_dynamic_stack 0
		.amdhsa_system_sgpr_private_segment_wavefront_offset 0
		.amdhsa_system_sgpr_workgroup_id_x 1
		.amdhsa_system_sgpr_workgroup_id_y 1
		.amdhsa_system_sgpr_workgroup_id_z 0
		.amdhsa_system_sgpr_workgroup_info 0
		.amdhsa_system_vgpr_workitem_id 1
		.amdhsa_next_free_vgpr 32
		.amdhsa_next_free_sgpr 36
		.amdhsa_accum_offset 32
		.amdhsa_reserve_vcc 1
		.amdhsa_reserve_flat_scratch 0
		.amdhsa_float_round_mode_32 0
		.amdhsa_float_round_mode_16_64 0
		.amdhsa_float_denorm_mode_32 3
		.amdhsa_float_denorm_mode_16_64 3
		.amdhsa_dx10_clamp 1
		.amdhsa_ieee_mode 1
		.amdhsa_fp16_overflow 0
		.amdhsa_tg_split 0
		.amdhsa_exception_fp_ieee_invalid_op 0
		.amdhsa_exception_fp_denorm_src 0
		.amdhsa_exception_fp_ieee_div_zero 0
		.amdhsa_exception_fp_ieee_overflow 0
		.amdhsa_exception_fp_ieee_underflow 0
		.amdhsa_exception_fp_ieee_inexact 0
		.amdhsa_exception_int_div_zero 0
	.end_amdhsa_kernel
	.section	.text._ZN9rocsparseL29gebsrmm_small_blockdim_kernelILi1ELi2ELi2ELi16E21rocsparse_complex_numIfEEEv20rocsparse_direction_20rocsparse_operation_iiNS_24const_host_device_scalarIT3_EEPKiS9_PKS6_iiSB_lS7_PS6_l21rocsparse_index_base_b,"axG",@progbits,_ZN9rocsparseL29gebsrmm_small_blockdim_kernelILi1ELi2ELi2ELi16E21rocsparse_complex_numIfEEEv20rocsparse_direction_20rocsparse_operation_iiNS_24const_host_device_scalarIT3_EEPKiS9_PKS6_iiSB_lS7_PS6_l21rocsparse_index_base_b,comdat
.Lfunc_end24:
	.size	_ZN9rocsparseL29gebsrmm_small_blockdim_kernelILi1ELi2ELi2ELi16E21rocsparse_complex_numIfEEEv20rocsparse_direction_20rocsparse_operation_iiNS_24const_host_device_scalarIT3_EEPKiS9_PKS6_iiSB_lS7_PS6_l21rocsparse_index_base_b, .Lfunc_end24-_ZN9rocsparseL29gebsrmm_small_blockdim_kernelILi1ELi2ELi2ELi16E21rocsparse_complex_numIfEEEv20rocsparse_direction_20rocsparse_operation_iiNS_24const_host_device_scalarIT3_EEPKiS9_PKS6_iiSB_lS7_PS6_l21rocsparse_index_base_b
                                        ; -- End function
	.section	.AMDGPU.csdata,"",@progbits
; Kernel info:
; codeLenInByte = 1288
; NumSgprs: 40
; NumVgprs: 32
; NumAgprs: 0
; TotalNumVgprs: 32
; ScratchSize: 0
; MemoryBound: 0
; FloatMode: 240
; IeeeMode: 1
; LDSByteSize: 288 bytes/workgroup (compile time only)
; SGPRBlocks: 4
; VGPRBlocks: 3
; NumSGPRsForWavesPerEU: 40
; NumVGPRsForWavesPerEU: 32
; AccumOffset: 32
; Occupancy: 8
; WaveLimiterHint : 1
; COMPUTE_PGM_RSRC2:SCRATCH_EN: 0
; COMPUTE_PGM_RSRC2:USER_SGPR: 6
; COMPUTE_PGM_RSRC2:TRAP_HANDLER: 0
; COMPUTE_PGM_RSRC2:TGID_X_EN: 1
; COMPUTE_PGM_RSRC2:TGID_Y_EN: 1
; COMPUTE_PGM_RSRC2:TGID_Z_EN: 0
; COMPUTE_PGM_RSRC2:TIDIG_COMP_CNT: 1
; COMPUTE_PGM_RSRC3_GFX90A:ACCUM_OFFSET: 7
; COMPUTE_PGM_RSRC3_GFX90A:TG_SPLIT: 0
	.section	.text._ZN9rocsparseL29gebsrmm_small_blockdim_kernelILi1ELi3ELi3ELi16E21rocsparse_complex_numIfEEEv20rocsparse_direction_20rocsparse_operation_iiNS_24const_host_device_scalarIT3_EEPKiS9_PKS6_iiSB_lS7_PS6_l21rocsparse_index_base_b,"axG",@progbits,_ZN9rocsparseL29gebsrmm_small_blockdim_kernelILi1ELi3ELi3ELi16E21rocsparse_complex_numIfEEEv20rocsparse_direction_20rocsparse_operation_iiNS_24const_host_device_scalarIT3_EEPKiS9_PKS6_iiSB_lS7_PS6_l21rocsparse_index_base_b,comdat
	.globl	_ZN9rocsparseL29gebsrmm_small_blockdim_kernelILi1ELi3ELi3ELi16E21rocsparse_complex_numIfEEEv20rocsparse_direction_20rocsparse_operation_iiNS_24const_host_device_scalarIT3_EEPKiS9_PKS6_iiSB_lS7_PS6_l21rocsparse_index_base_b ; -- Begin function _ZN9rocsparseL29gebsrmm_small_blockdim_kernelILi1ELi3ELi3ELi16E21rocsparse_complex_numIfEEEv20rocsparse_direction_20rocsparse_operation_iiNS_24const_host_device_scalarIT3_EEPKiS9_PKS6_iiSB_lS7_PS6_l21rocsparse_index_base_b
	.p2align	8
	.type	_ZN9rocsparseL29gebsrmm_small_blockdim_kernelILi1ELi3ELi3ELi16E21rocsparse_complex_numIfEEEv20rocsparse_direction_20rocsparse_operation_iiNS_24const_host_device_scalarIT3_EEPKiS9_PKS6_iiSB_lS7_PS6_l21rocsparse_index_base_b,@function
_ZN9rocsparseL29gebsrmm_small_blockdim_kernelILi1ELi3ELi3ELi16E21rocsparse_complex_numIfEEEv20rocsparse_direction_20rocsparse_operation_iiNS_24const_host_device_scalarIT3_EEPKiS9_PKS6_iiSB_lS7_PS6_l21rocsparse_index_base_b: ; @_ZN9rocsparseL29gebsrmm_small_blockdim_kernelILi1ELi3ELi3ELi16E21rocsparse_complex_numIfEEEv20rocsparse_direction_20rocsparse_operation_iiNS_24const_host_device_scalarIT3_EEPKiS9_PKS6_iiSB_lS7_PS6_l21rocsparse_index_base_b
; %bb.0:
	s_load_dwordx2 s[20:21], s[4:5], 0x60
	s_load_dwordx2 s[2:3], s[4:5], 0x10
	s_waitcnt lgkmcnt(0)
	s_bitcmp1_b32 s21, 0
	s_cselect_b64 s[0:1], -1, 0
	s_xor_b64 s[12:13], s[0:1], -1
	s_and_b64 vcc, exec, s[0:1]
	v_mov_b32_e32 v2, s2
	s_cbranch_vccnz .LBB25_2
; %bb.1:
	v_pk_mov_b32 v[2:3], s[2:3], s[2:3] op_sel:[0,1]
	flat_load_dword v2, v[2:3]
.LBB25_2:
	s_load_dwordx4 s[8:11], s[4:5], 0x40
	v_cndmask_b32_e64 v1, 0, 1, s[12:13]
	v_cmp_ne_u32_e64 s[0:1], 1, v1
	s_andn2_b64 vcc, exec, s[12:13]
	v_mov_b32_e32 v3, s3
	s_cbranch_vccz .LBB25_23
; %bb.3:
	s_and_b64 vcc, exec, s[0:1]
	s_waitcnt lgkmcnt(0)
	v_mov_b32_e32 v4, s10
	s_cbranch_vccz .LBB25_24
.LBB25_4:
	s_and_b64 vcc, exec, s[0:1]
	v_mov_b32_e32 v5, s11
	s_cbranch_vccnz .LBB25_6
.LBB25_5:
	v_pk_mov_b32 v[6:7], s[10:11], s[10:11] op_sel:[0,1]
	flat_load_dword v5, v[6:7] offset:4
.LBB25_6:
	s_waitcnt vmcnt(0)
	v_and_b32_e32 v1, 0x7fffffff, v2
	v_cmp_eq_u32_e32 vcc, 0, v1
	v_cmp_eq_f32_e64 s[0:1], 0, v3
	s_and_b64 s[10:11], vcc, s[0:1]
	s_mov_b64 s[0:1], -1
	s_and_saveexec_b64 s[2:3], s[10:11]
	s_cbranch_execz .LBB25_8
; %bb.7:
	s_waitcnt lgkmcnt(0)
	v_and_b32_e32 v1, 0x7fffffff, v5
	v_cmp_neq_f32_e32 vcc, 1.0, v4
	v_cmp_ne_u32_e64 s[0:1], 0, v1
	s_or_b64 s[0:1], vcc, s[0:1]
	s_orn2_b64 s[0:1], s[0:1], exec
.LBB25_8:
	s_or_b64 exec, exec, s[2:3]
	s_and_saveexec_b64 s[2:3], s[0:1]
	s_cbranch_execz .LBB25_30
; %bb.9:
	s_load_dwordx4 s[16:19], s[4:5], 0x4
	s_mov_b32 s24, 0
	s_mov_b32 s21, 0
	s_waitcnt lgkmcnt(0)
	s_cmp_lt_i32 s6, s17
	s_cselect_b64 s[22:23], -1, 0
	s_cmp_ge_i32 s6, s17
	s_cbranch_scc1 .LBB25_11
; %bb.10:
	s_load_dwordx2 s[2:3], s[4:5], 0x18
	s_mov_b32 s0, s7
	s_ashr_i32 s7, s6, 31
	s_lshl_b64 s[10:11], s[6:7], 2
	s_mov_b32 s7, s0
	s_waitcnt lgkmcnt(0)
	s_add_u32 s0, s2, s10
	s_addc_u32 s1, s3, s11
	s_load_dwordx2 s[0:1], s[0:1], 0x0
	s_waitcnt lgkmcnt(0)
	s_sub_i32 s24, s0, s20
	s_sub_i32 s21, s1, s20
.LBB25_11:
	s_load_dwordx2 s[10:11], s[4:5], 0x50
	v_bfe_u32 v8, v0, 10, 10
	v_and_b32_e32 v12, 0x3ff, v0
	v_lshl_add_u32 v6, s7, 4, v8
	v_mov_b32_e32 v1, 0
	v_ashrrev_i32_e32 v7, 31, v6
	v_cmp_gt_i32_e64 s[0:1], s18, v6
	v_cmp_eq_u32_e64 s[2:3], 0, v12
	s_cmp_ge_i32 s24, s21
	v_mov_b32_e32 v0, v1
	s_cbranch_scc1 .LBB25_25
; %bb.12:
	s_load_dwordx4 s[12:15], s[4:5], 0x20
	s_load_dwordx2 s[28:29], s[4:5], 0x38
	v_cmp_lt_u32_e32 vcc, 2, v12
	s_xor_b64 s[18:19], s[0:1], -1
	s_or_b64 s[18:19], vcc, s[18:19]
	v_cmp_gt_u32_e32 vcc, 3, v8
	v_lshlrev_b64 v[0:1], 3, v[6:7]
	s_and_b64 s[26:27], s[2:3], vcc
	s_waitcnt lgkmcnt(0)
	v_mov_b32_e32 v9, s29
	v_add_co_u32_e32 v13, vcc, s28, v0
	v_addc_co_u32_e32 v14, vcc, v9, v1, vcc
	v_mul_lo_u32 v10, v7, s8
	v_mul_lo_u32 v11, v6, s9
	v_mad_u64_u32 v[0:1], s[30:31], v6, s8, 0
	v_add3_u32 v1, v1, v11, v10
	s_cmpk_lg_i32 s16, 0x6f
	v_lshlrev_b64 v[0:1], 3, v[0:1]
	s_cselect_b64 s[16:17], -1, 0
	v_add_co_u32_e32 v0, vcc, s28, v0
	s_ashr_i32 s25, s24, 31
	v_mul_u32_u24_e32 v10, 3, v8
	v_addc_co_u32_e32 v1, vcc, v9, v1, vcc
	v_lshlrev_b32_e32 v9, 3, v12
	s_lshl_b64 s[28:29], s[24:25], 2
	v_add_lshl_u32 v15, v10, v12, 3
	v_add_co_u32_e32 v16, vcc, v0, v9
	v_lshlrev_b32_e32 v20, 3, v10
	s_add_u32 s12, s12, s28
	v_mov_b32_e32 v10, 0
	v_addc_co_u32_e32 v17, vcc, 0, v1, vcc
	v_add_u32_e32 v18, 0x180, v15
	v_add_u32_e32 v19, 0x180, v9
	s_addc_u32 s13, s13, s29
	v_mad_u64_u32 v[8:9], s[28:29], s24, 3, v[8:9]
	v_mov_b32_e32 v0, 0
	v_mov_b32_e32 v1, v10
	s_branch .LBB25_14
.LBB25_13:                              ;   in Loop: Header=BB25_14 Depth=1
	s_or_b64 exec, exec, s[28:29]
	s_waitcnt lgkmcnt(0)
	; wave barrier
	s_waitcnt lgkmcnt(0)
	ds_read2_b64 v[22:25], v19 offset1:3
	ds_read2_b64 v[26:29], v20 offset1:1
	ds_read_b64 v[30:31], v20 offset:16
	ds_read_b64 v[32:33], v19 offset:48
	s_add_i32 s24, s24, 1
	s_add_u32 s12, s12, 4
	s_waitcnt lgkmcnt(2)
	v_pk_fma_f32 v[0:1], v[22:23], v[26:27], v[0:1] op_sel_hi:[1,0,1]
	v_pk_fma_f32 v[0:1], v[22:23], v[26:27], v[0:1] op_sel:[1,1,0] op_sel_hi:[0,1,1] neg_lo:[1,0,0]
	v_pk_fma_f32 v[0:1], v[24:25], v[28:29], v[0:1] op_sel_hi:[1,0,1]
	v_mov_b32_e32 v22, v29
	v_pk_fma_f32 v[0:1], v[24:25], v[22:23], v[0:1] op_sel:[1,0,0] op_sel_hi:[0,0,1] neg_lo:[1,0,0]
	s_waitcnt lgkmcnt(0)
	v_pk_fma_f32 v[0:1], v[32:33], v[30:31], v[0:1] op_sel_hi:[1,0,1]
	s_addc_u32 s13, s13, 0
	v_pk_fma_f32 v[0:1], v[32:33], v[30:31], v[0:1] op_sel:[1,1,0] op_sel_hi:[0,1,1] neg_lo:[1,0,0]
	s_cmp_ge_i32 s24, s21
	v_add_u32_e32 v8, 3, v8
	s_waitcnt lgkmcnt(0)
	; wave barrier
	s_cbranch_scc1 .LBB25_25
.LBB25_14:                              ; =>This Inner Loop Header: Depth=1
	s_and_saveexec_b64 s[28:29], s[18:19]
	s_xor_b64 s[28:29], exec, s[28:29]
	s_cbranch_execz .LBB25_16
; %bb.15:                               ;   in Loop: Header=BB25_14 Depth=1
	v_mov_b32_e32 v11, v10
	ds_write_b64 v15, v[10:11]
.LBB25_16:                              ;   in Loop: Header=BB25_14 Depth=1
	s_andn2_saveexec_b64 s[28:29], s[28:29]
	s_cbranch_execz .LBB25_21
; %bb.17:                               ;   in Loop: Header=BB25_14 Depth=1
	s_load_dword s7, s[12:13], 0x0
	s_mov_b64 s[34:35], -1
	s_and_b64 vcc, exec, s[16:17]
	s_waitcnt lgkmcnt(0)
	s_sub_i32 s7, s7, s20
	s_mul_i32 s30, s7, 3
	s_cbranch_vccz .LBB25_19
; %bb.18:                               ;   in Loop: Header=BB25_14 Depth=1
	v_add_u32_e32 v9, s30, v12
	v_ashrrev_i32_e32 v11, 31, v9
	v_mul_lo_u32 v11, v11, s8
	v_mul_lo_u32 v21, v9, s9
	v_mad_u64_u32 v[22:23], s[34:35], v9, s8, 0
	v_add3_u32 v23, v23, v21, v11
	v_lshlrev_b64 v[22:23], 3, v[22:23]
	v_add_co_u32_e32 v22, vcc, v13, v22
	v_addc_co_u32_e32 v23, vcc, v14, v23, vcc
	global_load_dwordx2 v[22:23], v[22:23], off
	s_mov_b64 s[34:35], 0
	s_waitcnt vmcnt(0)
	ds_write_b64 v15, v[22:23]
.LBB25_19:                              ;   in Loop: Header=BB25_14 Depth=1
	s_andn2_b64 vcc, exec, s[34:35]
	s_cbranch_vccnz .LBB25_21
; %bb.20:                               ;   in Loop: Header=BB25_14 Depth=1
	s_ashr_i32 s31, s30, 31
	s_lshl_b64 s[30:31], s[30:31], 3
	v_mov_b32_e32 v9, s31
	v_add_co_u32_e32 v22, vcc, s30, v16
	v_addc_co_u32_e32 v23, vcc, v17, v9, vcc
	global_load_dwordx2 v[22:23], v[22:23], off
	s_waitcnt vmcnt(0)
	ds_write_b64 v15, v[22:23]
.LBB25_21:                              ;   in Loop: Header=BB25_14 Depth=1
	s_or_b64 exec, exec, s[28:29]
	s_and_saveexec_b64 s[28:29], s[26:27]
	s_cbranch_execz .LBB25_13
; %bb.22:                               ;   in Loop: Header=BB25_14 Depth=1
	v_ashrrev_i32_e32 v9, 31, v8
	v_lshlrev_b64 v[22:23], 3, v[8:9]
	v_mov_b32_e32 v9, s15
	v_add_co_u32_e32 v22, vcc, s14, v22
	v_addc_co_u32_e32 v23, vcc, v9, v23, vcc
	global_load_dwordx2 v[22:23], v[22:23], off
	s_waitcnt vmcnt(0)
	ds_write_b64 v18, v[22:23]
	s_branch .LBB25_13
.LBB25_23:
	v_pk_mov_b32 v[4:5], s[2:3], s[2:3] op_sel:[0,1]
	flat_load_dword v3, v[4:5] offset:4
	s_and_b64 vcc, exec, s[0:1]
	s_waitcnt lgkmcnt(0)
	v_mov_b32_e32 v4, s10
	s_cbranch_vccnz .LBB25_4
.LBB25_24:
	v_pk_mov_b32 v[4:5], s[10:11], s[10:11] op_sel:[0,1]
	flat_load_dword v4, v[4:5]
	s_and_b64 vcc, exec, s[0:1]
	v_mov_b32_e32 v5, s11
	s_cbranch_vccz .LBB25_5
	s_branch .LBB25_6
.LBB25_25:
	s_and_b64 s[0:1], s[2:3], s[0:1]
	s_and_b64 s[0:1], s[22:23], s[0:1]
	s_and_b64 exec, exec, s[0:1]
	s_cbranch_execz .LBB25_30
; %bb.26:
	s_load_dwordx2 s[0:1], s[4:5], 0x58
	v_add_u32_e32 v8, s6, v12
	s_waitcnt lgkmcnt(0)
	v_mul_lo_u32 v9, v7, s0
	v_mul_lo_u32 v10, v6, s1
	v_mad_u64_u32 v[6:7], s[0:1], v6, s0, 0
	v_add3_u32 v7, v7, v10, v9
	v_and_b32_e32 v9, 0x7fffffff, v4
	v_cmp_ne_u32_e32 vcc, 0, v9
	v_cmp_neq_f32_e64 s[0:1], 0, v5
	s_or_b64 s[0:1], vcc, s[0:1]
	v_ashrrev_i32_e32 v9, 31, v8
	v_lshlrev_b64 v[6:7], 3, v[6:7]
	s_and_saveexec_b64 s[2:3], s[0:1]
	s_xor_b64 s[0:1], exec, s[2:3]
	s_cbranch_execz .LBB25_28
; %bb.27:
	v_mov_b32_e32 v10, s11
	v_add_co_u32_e32 v11, vcc, s10, v6
	v_addc_co_u32_e32 v10, vcc, v10, v7, vcc
	v_lshlrev_b64 v[6:7], 3, v[8:9]
	v_add_co_u32_e32 v6, vcc, v11, v6
	v_addc_co_u32_e32 v7, vcc, v10, v7, vcc
	global_load_dwordx2 v[8:9], v[6:7], off
	v_xor_b32_e32 v10, 0x80000000, v3
	v_mov_b32_e32 v11, v2
	v_pk_mul_f32 v[10:11], v[0:1], v[10:11] op_sel:[1,0]
	v_pk_fma_f32 v[0:1], v[2:3], v[0:1], v[10:11] op_sel_hi:[1,0,1]
	v_xor_b32_e32 v12, 0x80000000, v5
	v_mov_b32_e32 v13, v4
                                        ; implicit-def: $vgpr3
	s_waitcnt vmcnt(0)
	v_pk_fma_f32 v[0:1], v[4:5], v[8:9], v[0:1] op_sel_hi:[1,0,1]
	v_pk_fma_f32 v[0:1], v[12:13], v[8:9], v[0:1] op_sel:[0,1,0]
	global_store_dwordx2 v[6:7], v[0:1], off
                                        ; implicit-def: $vgpr8
                                        ; implicit-def: $vgpr6_vgpr7
                                        ; implicit-def: $vgpr0_vgpr1
.LBB25_28:
	s_andn2_saveexec_b64 s[0:1], s[0:1]
	s_cbranch_execz .LBB25_30
; %bb.29:
	v_mov_b32_e32 v5, s11
	v_add_co_u32_e32 v10, vcc, s10, v6
	v_addc_co_u32_e32 v5, vcc, v5, v7, vcc
	v_lshlrev_b64 v[6:7], 3, v[8:9]
	v_add_co_u32_e32 v6, vcc, v10, v6
	v_xor_b32_e32 v4, 0x80000000, v3
	v_addc_co_u32_e32 v7, vcc, v5, v7, vcc
	v_mov_b32_e32 v5, v2
	v_pk_mul_f32 v[4:5], v[0:1], v[4:5] op_sel:[1,0]
	v_pk_fma_f32 v[0:1], v[2:3], v[0:1], v[4:5] op_sel_hi:[1,0,1]
	global_store_dwordx2 v[6:7], v[0:1], off
.LBB25_30:
	s_endpgm
	.section	.rodata,"a",@progbits
	.p2align	6, 0x0
	.amdhsa_kernel _ZN9rocsparseL29gebsrmm_small_blockdim_kernelILi1ELi3ELi3ELi16E21rocsparse_complex_numIfEEEv20rocsparse_direction_20rocsparse_operation_iiNS_24const_host_device_scalarIT3_EEPKiS9_PKS6_iiSB_lS7_PS6_l21rocsparse_index_base_b
		.amdhsa_group_segment_fixed_size 456
		.amdhsa_private_segment_fixed_size 0
		.amdhsa_kernarg_size 104
		.amdhsa_user_sgpr_count 6
		.amdhsa_user_sgpr_private_segment_buffer 1
		.amdhsa_user_sgpr_dispatch_ptr 0
		.amdhsa_user_sgpr_queue_ptr 0
		.amdhsa_user_sgpr_kernarg_segment_ptr 1
		.amdhsa_user_sgpr_dispatch_id 0
		.amdhsa_user_sgpr_flat_scratch_init 0
		.amdhsa_user_sgpr_kernarg_preload_length 0
		.amdhsa_user_sgpr_kernarg_preload_offset 0
		.amdhsa_user_sgpr_private_segment_size 0
		.amdhsa_uses_dynamic_stack 0
		.amdhsa_system_sgpr_private_segment_wavefront_offset 0
		.amdhsa_system_sgpr_workgroup_id_x 1
		.amdhsa_system_sgpr_workgroup_id_y 1
		.amdhsa_system_sgpr_workgroup_id_z 0
		.amdhsa_system_sgpr_workgroup_info 0
		.amdhsa_system_vgpr_workitem_id 1
		.amdhsa_next_free_vgpr 34
		.amdhsa_next_free_sgpr 36
		.amdhsa_accum_offset 36
		.amdhsa_reserve_vcc 1
		.amdhsa_reserve_flat_scratch 0
		.amdhsa_float_round_mode_32 0
		.amdhsa_float_round_mode_16_64 0
		.amdhsa_float_denorm_mode_32 3
		.amdhsa_float_denorm_mode_16_64 3
		.amdhsa_dx10_clamp 1
		.amdhsa_ieee_mode 1
		.amdhsa_fp16_overflow 0
		.amdhsa_tg_split 0
		.amdhsa_exception_fp_ieee_invalid_op 0
		.amdhsa_exception_fp_denorm_src 0
		.amdhsa_exception_fp_ieee_div_zero 0
		.amdhsa_exception_fp_ieee_overflow 0
		.amdhsa_exception_fp_ieee_underflow 0
		.amdhsa_exception_fp_ieee_inexact 0
		.amdhsa_exception_int_div_zero 0
	.end_amdhsa_kernel
	.section	.text._ZN9rocsparseL29gebsrmm_small_blockdim_kernelILi1ELi3ELi3ELi16E21rocsparse_complex_numIfEEEv20rocsparse_direction_20rocsparse_operation_iiNS_24const_host_device_scalarIT3_EEPKiS9_PKS6_iiSB_lS7_PS6_l21rocsparse_index_base_b,"axG",@progbits,_ZN9rocsparseL29gebsrmm_small_blockdim_kernelILi1ELi3ELi3ELi16E21rocsparse_complex_numIfEEEv20rocsparse_direction_20rocsparse_operation_iiNS_24const_host_device_scalarIT3_EEPKiS9_PKS6_iiSB_lS7_PS6_l21rocsparse_index_base_b,comdat
.Lfunc_end25:
	.size	_ZN9rocsparseL29gebsrmm_small_blockdim_kernelILi1ELi3ELi3ELi16E21rocsparse_complex_numIfEEEv20rocsparse_direction_20rocsparse_operation_iiNS_24const_host_device_scalarIT3_EEPKiS9_PKS6_iiSB_lS7_PS6_l21rocsparse_index_base_b, .Lfunc_end25-_ZN9rocsparseL29gebsrmm_small_blockdim_kernelILi1ELi3ELi3ELi16E21rocsparse_complex_numIfEEEv20rocsparse_direction_20rocsparse_operation_iiNS_24const_host_device_scalarIT3_EEPKiS9_PKS6_iiSB_lS7_PS6_l21rocsparse_index_base_b
                                        ; -- End function
	.section	.AMDGPU.csdata,"",@progbits
; Kernel info:
; codeLenInByte = 1324
; NumSgprs: 40
; NumVgprs: 34
; NumAgprs: 0
; TotalNumVgprs: 34
; ScratchSize: 0
; MemoryBound: 0
; FloatMode: 240
; IeeeMode: 1
; LDSByteSize: 456 bytes/workgroup (compile time only)
; SGPRBlocks: 4
; VGPRBlocks: 4
; NumSGPRsForWavesPerEU: 40
; NumVGPRsForWavesPerEU: 34
; AccumOffset: 36
; Occupancy: 8
; WaveLimiterHint : 1
; COMPUTE_PGM_RSRC2:SCRATCH_EN: 0
; COMPUTE_PGM_RSRC2:USER_SGPR: 6
; COMPUTE_PGM_RSRC2:TRAP_HANDLER: 0
; COMPUTE_PGM_RSRC2:TGID_X_EN: 1
; COMPUTE_PGM_RSRC2:TGID_Y_EN: 1
; COMPUTE_PGM_RSRC2:TGID_Z_EN: 0
; COMPUTE_PGM_RSRC2:TIDIG_COMP_CNT: 1
; COMPUTE_PGM_RSRC3_GFX90A:ACCUM_OFFSET: 8
; COMPUTE_PGM_RSRC3_GFX90A:TG_SPLIT: 0
	.section	.text._ZN9rocsparseL29gebsrmm_small_blockdim_kernelILi1ELi4ELi4ELi16E21rocsparse_complex_numIfEEEv20rocsparse_direction_20rocsparse_operation_iiNS_24const_host_device_scalarIT3_EEPKiS9_PKS6_iiSB_lS7_PS6_l21rocsparse_index_base_b,"axG",@progbits,_ZN9rocsparseL29gebsrmm_small_blockdim_kernelILi1ELi4ELi4ELi16E21rocsparse_complex_numIfEEEv20rocsparse_direction_20rocsparse_operation_iiNS_24const_host_device_scalarIT3_EEPKiS9_PKS6_iiSB_lS7_PS6_l21rocsparse_index_base_b,comdat
	.globl	_ZN9rocsparseL29gebsrmm_small_blockdim_kernelILi1ELi4ELi4ELi16E21rocsparse_complex_numIfEEEv20rocsparse_direction_20rocsparse_operation_iiNS_24const_host_device_scalarIT3_EEPKiS9_PKS6_iiSB_lS7_PS6_l21rocsparse_index_base_b ; -- Begin function _ZN9rocsparseL29gebsrmm_small_blockdim_kernelILi1ELi4ELi4ELi16E21rocsparse_complex_numIfEEEv20rocsparse_direction_20rocsparse_operation_iiNS_24const_host_device_scalarIT3_EEPKiS9_PKS6_iiSB_lS7_PS6_l21rocsparse_index_base_b
	.p2align	8
	.type	_ZN9rocsparseL29gebsrmm_small_blockdim_kernelILi1ELi4ELi4ELi16E21rocsparse_complex_numIfEEEv20rocsparse_direction_20rocsparse_operation_iiNS_24const_host_device_scalarIT3_EEPKiS9_PKS6_iiSB_lS7_PS6_l21rocsparse_index_base_b,@function
_ZN9rocsparseL29gebsrmm_small_blockdim_kernelILi1ELi4ELi4ELi16E21rocsparse_complex_numIfEEEv20rocsparse_direction_20rocsparse_operation_iiNS_24const_host_device_scalarIT3_EEPKiS9_PKS6_iiSB_lS7_PS6_l21rocsparse_index_base_b: ; @_ZN9rocsparseL29gebsrmm_small_blockdim_kernelILi1ELi4ELi4ELi16E21rocsparse_complex_numIfEEEv20rocsparse_direction_20rocsparse_operation_iiNS_24const_host_device_scalarIT3_EEPKiS9_PKS6_iiSB_lS7_PS6_l21rocsparse_index_base_b
; %bb.0:
	s_load_dwordx2 s[20:21], s[4:5], 0x60
	s_load_dwordx2 s[2:3], s[4:5], 0x10
	s_waitcnt lgkmcnt(0)
	s_bitcmp1_b32 s21, 0
	s_cselect_b64 s[0:1], -1, 0
	s_xor_b64 s[12:13], s[0:1], -1
	s_and_b64 vcc, exec, s[0:1]
	v_mov_b32_e32 v2, s2
	s_cbranch_vccnz .LBB26_2
; %bb.1:
	v_pk_mov_b32 v[2:3], s[2:3], s[2:3] op_sel:[0,1]
	flat_load_dword v2, v[2:3]
.LBB26_2:
	s_load_dwordx4 s[8:11], s[4:5], 0x40
	v_cndmask_b32_e64 v1, 0, 1, s[12:13]
	v_cmp_ne_u32_e64 s[0:1], 1, v1
	s_andn2_b64 vcc, exec, s[12:13]
	v_mov_b32_e32 v3, s3
	s_cbranch_vccz .LBB26_23
; %bb.3:
	s_and_b64 vcc, exec, s[0:1]
	s_waitcnt lgkmcnt(0)
	v_mov_b32_e32 v4, s10
	s_cbranch_vccz .LBB26_24
.LBB26_4:
	s_and_b64 vcc, exec, s[0:1]
	v_mov_b32_e32 v5, s11
	s_cbranch_vccnz .LBB26_6
.LBB26_5:
	v_pk_mov_b32 v[6:7], s[10:11], s[10:11] op_sel:[0,1]
	flat_load_dword v5, v[6:7] offset:4
.LBB26_6:
	s_waitcnt vmcnt(0)
	v_and_b32_e32 v1, 0x7fffffff, v2
	v_cmp_eq_u32_e32 vcc, 0, v1
	v_cmp_eq_f32_e64 s[0:1], 0, v3
	s_and_b64 s[10:11], vcc, s[0:1]
	s_mov_b64 s[0:1], -1
	s_and_saveexec_b64 s[2:3], s[10:11]
	s_cbranch_execz .LBB26_8
; %bb.7:
	s_waitcnt lgkmcnt(0)
	v_and_b32_e32 v1, 0x7fffffff, v5
	v_cmp_neq_f32_e32 vcc, 1.0, v4
	v_cmp_ne_u32_e64 s[0:1], 0, v1
	s_or_b64 s[0:1], vcc, s[0:1]
	s_orn2_b64 s[0:1], s[0:1], exec
.LBB26_8:
	s_or_b64 exec, exec, s[2:3]
	s_and_saveexec_b64 s[2:3], s[0:1]
	s_cbranch_execz .LBB26_30
; %bb.9:
	s_load_dwordx4 s[16:19], s[4:5], 0x4
	s_mov_b32 s24, 0
	s_mov_b32 s21, 0
	s_waitcnt lgkmcnt(0)
	s_cmp_lt_i32 s6, s17
	s_cselect_b64 s[22:23], -1, 0
	s_cmp_ge_i32 s6, s17
	s_cbranch_scc1 .LBB26_11
; %bb.10:
	s_load_dwordx2 s[2:3], s[4:5], 0x18
	s_mov_b32 s0, s7
	s_ashr_i32 s7, s6, 31
	s_lshl_b64 s[10:11], s[6:7], 2
	s_mov_b32 s7, s0
	s_waitcnt lgkmcnt(0)
	s_add_u32 s0, s2, s10
	s_addc_u32 s1, s3, s11
	s_load_dwordx2 s[0:1], s[0:1], 0x0
	s_waitcnt lgkmcnt(0)
	s_sub_i32 s24, s0, s20
	s_sub_i32 s21, s1, s20
.LBB26_11:
	s_load_dwordx2 s[10:11], s[4:5], 0x50
	v_bfe_u32 v8, v0, 10, 10
	v_and_b32_e32 v12, 0x3ff, v0
	v_lshl_add_u32 v0, s7, 4, v8
	v_mov_b32_e32 v7, 0
	v_ashrrev_i32_e32 v1, 31, v0
	v_cmp_gt_i32_e64 s[0:1], s18, v0
	v_cmp_eq_u32_e64 s[2:3], 0, v12
	s_cmp_ge_i32 s24, s21
	v_mov_b32_e32 v6, v7
	s_cbranch_scc1 .LBB26_25
; %bb.12:
	s_load_dwordx4 s[12:15], s[4:5], 0x20
	s_load_dwordx2 s[28:29], s[4:5], 0x38
	v_cmp_lt_u32_e32 vcc, 3, v12
	s_xor_b64 s[18:19], s[0:1], -1
	s_or_b64 s[18:19], vcc, s[18:19]
	v_cmp_gt_u32_e32 vcc, 4, v8
	v_lshlrev_b64 v[6:7], 3, v[0:1]
	s_and_b64 s[26:27], s[2:3], vcc
	s_waitcnt lgkmcnt(0)
	v_mov_b32_e32 v9, s29
	v_add_co_u32_e32 v13, vcc, s28, v6
	v_addc_co_u32_e32 v14, vcc, v9, v7, vcc
	v_mul_lo_u32 v10, v1, s8
	v_mul_lo_u32 v11, v0, s9
	v_mad_u64_u32 v[6:7], s[30:31], v0, s8, 0
	v_add3_u32 v7, v7, v11, v10
	s_cmpk_lg_i32 s16, 0x6f
	v_lshlrev_b64 v[6:7], 3, v[6:7]
	s_cselect_b64 s[16:17], -1, 0
	v_add_co_u32_e32 v6, vcc, s28, v6
	s_ashr_i32 s25, s24, 31
	v_lshlrev_b32_e32 v10, 2, v8
	v_addc_co_u32_e32 v7, vcc, v9, v7, vcc
	v_lshlrev_b32_e32 v9, 3, v12
	s_lshl_b64 s[28:29], s[24:25], 2
	v_add_lshl_u32 v15, v10, v12, 3
	v_add_co_u32_e32 v16, vcc, v6, v9
	s_add_u32 s12, s12, s28
	v_mov_b32_e32 v10, 0
	v_addc_co_u32_e32 v17, vcc, 0, v7, vcc
	v_add_u32_e32 v18, 0x200, v15
	v_add_u32_e32 v19, 0x200, v9
	v_lshlrev_b32_e32 v20, 5, v8
	s_addc_u32 s13, s13, s29
	v_lshl_add_u32 v8, s24, 2, v8
	v_mov_b32_e32 v6, 0
	v_mov_b32_e32 v7, v10
	s_branch .LBB26_14
.LBB26_13:                              ;   in Loop: Header=BB26_14 Depth=1
	s_or_b64 exec, exec, s[28:29]
	s_waitcnt lgkmcnt(0)
	; wave barrier
	s_waitcnt lgkmcnt(0)
	ds_read2_b64 v[22:25], v19 offset1:4
	ds_read_b128 v[26:29], v20
	ds_read_b128 v[30:33], v20 offset:16
	ds_read2_b64 v[34:37], v19 offset0:8 offset1:12
	s_add_i32 s24, s24, 1
	s_add_u32 s12, s12, 4
	s_waitcnt lgkmcnt(2)
	v_pk_fma_f32 v[6:7], v[22:23], v[26:27], v[6:7] op_sel_hi:[1,0,1]
	v_pk_fma_f32 v[6:7], v[22:23], v[26:27], v[6:7] op_sel:[1,1,0] op_sel_hi:[0,1,1] neg_lo:[1,0,0]
	v_pk_fma_f32 v[6:7], v[24:25], v[28:29], v[6:7] op_sel_hi:[1,0,1]
	v_mov_b32_e32 v22, v29
	v_pk_fma_f32 v[6:7], v[24:25], v[22:23], v[6:7] op_sel:[1,0,0] op_sel_hi:[0,0,1] neg_lo:[1,0,0]
	s_waitcnt lgkmcnt(0)
	v_pk_fma_f32 v[6:7], v[34:35], v[30:31], v[6:7] op_sel_hi:[1,0,1]
	v_pk_fma_f32 v[6:7], v[34:35], v[30:31], v[6:7] op_sel:[1,1,0] op_sel_hi:[0,1,1] neg_lo:[1,0,0]
	v_pk_fma_f32 v[6:7], v[36:37], v[32:33], v[6:7] op_sel_hi:[1,0,1]
	v_mov_b32_e32 v22, v33
	s_addc_u32 s13, s13, 0
	v_pk_fma_f32 v[6:7], v[36:37], v[22:23], v[6:7] op_sel:[1,0,0] op_sel_hi:[0,0,1] neg_lo:[1,0,0]
	s_cmp_ge_i32 s24, s21
	v_add_u32_e32 v8, 4, v8
	s_waitcnt lgkmcnt(0)
	; wave barrier
	s_cbranch_scc1 .LBB26_25
.LBB26_14:                              ; =>This Inner Loop Header: Depth=1
	s_and_saveexec_b64 s[28:29], s[18:19]
	s_xor_b64 s[28:29], exec, s[28:29]
	s_cbranch_execz .LBB26_16
; %bb.15:                               ;   in Loop: Header=BB26_14 Depth=1
	v_mov_b32_e32 v11, v10
	ds_write_b64 v15, v[10:11]
.LBB26_16:                              ;   in Loop: Header=BB26_14 Depth=1
	s_andn2_saveexec_b64 s[28:29], s[28:29]
	s_cbranch_execz .LBB26_21
; %bb.17:                               ;   in Loop: Header=BB26_14 Depth=1
	s_load_dword s7, s[12:13], 0x0
	s_mov_b64 s[34:35], -1
	s_and_b64 vcc, exec, s[16:17]
	s_waitcnt lgkmcnt(0)
	s_sub_i32 s7, s7, s20
	s_lshl_b32 s30, s7, 2
	s_cbranch_vccz .LBB26_19
; %bb.18:                               ;   in Loop: Header=BB26_14 Depth=1
	v_or_b32_e32 v9, s30, v12
	s_ashr_i32 s7, s30, 31
	v_mul_lo_u32 v11, v9, s9
	s_mul_i32 s7, s7, s8
	v_mad_u64_u32 v[22:23], s[34:35], v9, s8, 0
	v_add3_u32 v23, v23, v11, s7
	v_lshlrev_b64 v[22:23], 3, v[22:23]
	v_add_co_u32_e32 v22, vcc, v13, v22
	v_addc_co_u32_e32 v23, vcc, v14, v23, vcc
	global_load_dwordx2 v[22:23], v[22:23], off
	s_mov_b64 s[34:35], 0
	s_waitcnt vmcnt(0)
	ds_write_b64 v15, v[22:23]
.LBB26_19:                              ;   in Loop: Header=BB26_14 Depth=1
	s_andn2_b64 vcc, exec, s[34:35]
	s_cbranch_vccnz .LBB26_21
; %bb.20:                               ;   in Loop: Header=BB26_14 Depth=1
	s_ashr_i32 s31, s30, 31
	s_lshl_b64 s[30:31], s[30:31], 3
	v_mov_b32_e32 v9, s31
	v_add_co_u32_e32 v22, vcc, s30, v16
	v_addc_co_u32_e32 v23, vcc, v17, v9, vcc
	global_load_dwordx2 v[22:23], v[22:23], off
	s_waitcnt vmcnt(0)
	ds_write_b64 v15, v[22:23]
.LBB26_21:                              ;   in Loop: Header=BB26_14 Depth=1
	s_or_b64 exec, exec, s[28:29]
	s_and_saveexec_b64 s[28:29], s[26:27]
	s_cbranch_execz .LBB26_13
; %bb.22:                               ;   in Loop: Header=BB26_14 Depth=1
	v_ashrrev_i32_e32 v9, 31, v8
	v_lshlrev_b64 v[22:23], 3, v[8:9]
	v_mov_b32_e32 v9, s15
	v_add_co_u32_e32 v22, vcc, s14, v22
	v_addc_co_u32_e32 v23, vcc, v9, v23, vcc
	global_load_dwordx2 v[22:23], v[22:23], off
	s_waitcnt vmcnt(0)
	ds_write_b64 v18, v[22:23]
	s_branch .LBB26_13
.LBB26_23:
	v_pk_mov_b32 v[4:5], s[2:3], s[2:3] op_sel:[0,1]
	flat_load_dword v3, v[4:5] offset:4
	s_and_b64 vcc, exec, s[0:1]
	s_waitcnt lgkmcnt(0)
	v_mov_b32_e32 v4, s10
	s_cbranch_vccnz .LBB26_4
.LBB26_24:
	v_pk_mov_b32 v[4:5], s[10:11], s[10:11] op_sel:[0,1]
	flat_load_dword v4, v[4:5]
	s_and_b64 vcc, exec, s[0:1]
	v_mov_b32_e32 v5, s11
	s_cbranch_vccz .LBB26_5
	s_branch .LBB26_6
.LBB26_25:
	s_and_b64 s[0:1], s[2:3], s[0:1]
	s_and_b64 s[0:1], s[22:23], s[0:1]
	s_and_b64 exec, exec, s[0:1]
	s_cbranch_execz .LBB26_30
; %bb.26:
	s_load_dwordx2 s[0:1], s[4:5], 0x58
	v_add_u32_e32 v8, s6, v12
	s_waitcnt lgkmcnt(0)
	v_mul_lo_u32 v9, v1, s0
	v_mul_lo_u32 v10, v0, s1
	v_mad_u64_u32 v[0:1], s[0:1], v0, s0, 0
	v_add3_u32 v1, v1, v10, v9
	v_and_b32_e32 v9, 0x7fffffff, v4
	v_cmp_ne_u32_e32 vcc, 0, v9
	v_cmp_neq_f32_e64 s[0:1], 0, v5
	s_or_b64 s[0:1], vcc, s[0:1]
	v_ashrrev_i32_e32 v9, 31, v8
	v_lshlrev_b64 v[0:1], 3, v[0:1]
	s_and_saveexec_b64 s[2:3], s[0:1]
	s_xor_b64 s[0:1], exec, s[2:3]
	s_cbranch_execz .LBB26_28
; %bb.27:
	v_mov_b32_e32 v10, s11
	v_add_co_u32_e32 v11, vcc, s10, v0
	v_addc_co_u32_e32 v10, vcc, v10, v1, vcc
	v_lshlrev_b64 v[0:1], 3, v[8:9]
	v_add_co_u32_e32 v0, vcc, v11, v0
	v_addc_co_u32_e32 v1, vcc, v10, v1, vcc
	global_load_dwordx2 v[8:9], v[0:1], off
	v_xor_b32_e32 v10, 0x80000000, v3
	v_mov_b32_e32 v11, v2
	v_pk_mul_f32 v[10:11], v[6:7], v[10:11] op_sel:[1,0]
	v_pk_fma_f32 v[2:3], v[2:3], v[6:7], v[10:11] op_sel_hi:[1,0,1]
	v_xor_b32_e32 v12, 0x80000000, v5
	v_mov_b32_e32 v13, v4
                                        ; implicit-def: $vgpr6_vgpr7
	s_waitcnt vmcnt(0)
	v_pk_fma_f32 v[2:3], v[4:5], v[8:9], v[2:3] op_sel_hi:[1,0,1]
	v_pk_fma_f32 v[2:3], v[12:13], v[8:9], v[2:3] op_sel:[0,1,0]
	global_store_dwordx2 v[0:1], v[2:3], off
                                        ; implicit-def: $vgpr3
                                        ; implicit-def: $vgpr8
                                        ; implicit-def: $vgpr0_vgpr1
.LBB26_28:
	s_andn2_saveexec_b64 s[0:1], s[0:1]
	s_cbranch_execz .LBB26_30
; %bb.29:
	v_mov_b32_e32 v5, s11
	v_add_co_u32_e32 v10, vcc, s10, v0
	v_addc_co_u32_e32 v5, vcc, v5, v1, vcc
	v_lshlrev_b64 v[0:1], 3, v[8:9]
	v_add_co_u32_e32 v0, vcc, v10, v0
	v_xor_b32_e32 v4, 0x80000000, v3
	v_addc_co_u32_e32 v1, vcc, v5, v1, vcc
	v_mov_b32_e32 v5, v2
	v_pk_mul_f32 v[4:5], v[6:7], v[4:5] op_sel:[1,0]
	v_pk_fma_f32 v[2:3], v[2:3], v[6:7], v[4:5] op_sel_hi:[1,0,1]
	global_store_dwordx2 v[0:1], v[2:3], off
.LBB26_30:
	s_endpgm
	.section	.rodata,"a",@progbits
	.p2align	6, 0x0
	.amdhsa_kernel _ZN9rocsparseL29gebsrmm_small_blockdim_kernelILi1ELi4ELi4ELi16E21rocsparse_complex_numIfEEEv20rocsparse_direction_20rocsparse_operation_iiNS_24const_host_device_scalarIT3_EEPKiS9_PKS6_iiSB_lS7_PS6_l21rocsparse_index_base_b
		.amdhsa_group_segment_fixed_size 640
		.amdhsa_private_segment_fixed_size 0
		.amdhsa_kernarg_size 104
		.amdhsa_user_sgpr_count 6
		.amdhsa_user_sgpr_private_segment_buffer 1
		.amdhsa_user_sgpr_dispatch_ptr 0
		.amdhsa_user_sgpr_queue_ptr 0
		.amdhsa_user_sgpr_kernarg_segment_ptr 1
		.amdhsa_user_sgpr_dispatch_id 0
		.amdhsa_user_sgpr_flat_scratch_init 0
		.amdhsa_user_sgpr_kernarg_preload_length 0
		.amdhsa_user_sgpr_kernarg_preload_offset 0
		.amdhsa_user_sgpr_private_segment_size 0
		.amdhsa_uses_dynamic_stack 0
		.amdhsa_system_sgpr_private_segment_wavefront_offset 0
		.amdhsa_system_sgpr_workgroup_id_x 1
		.amdhsa_system_sgpr_workgroup_id_y 1
		.amdhsa_system_sgpr_workgroup_id_z 0
		.amdhsa_system_sgpr_workgroup_info 0
		.amdhsa_system_vgpr_workitem_id 1
		.amdhsa_next_free_vgpr 38
		.amdhsa_next_free_sgpr 36
		.amdhsa_accum_offset 40
		.amdhsa_reserve_vcc 1
		.amdhsa_reserve_flat_scratch 0
		.amdhsa_float_round_mode_32 0
		.amdhsa_float_round_mode_16_64 0
		.amdhsa_float_denorm_mode_32 3
		.amdhsa_float_denorm_mode_16_64 3
		.amdhsa_dx10_clamp 1
		.amdhsa_ieee_mode 1
		.amdhsa_fp16_overflow 0
		.amdhsa_tg_split 0
		.amdhsa_exception_fp_ieee_invalid_op 0
		.amdhsa_exception_fp_denorm_src 0
		.amdhsa_exception_fp_ieee_div_zero 0
		.amdhsa_exception_fp_ieee_overflow 0
		.amdhsa_exception_fp_ieee_underflow 0
		.amdhsa_exception_fp_ieee_inexact 0
		.amdhsa_exception_int_div_zero 0
	.end_amdhsa_kernel
	.section	.text._ZN9rocsparseL29gebsrmm_small_blockdim_kernelILi1ELi4ELi4ELi16E21rocsparse_complex_numIfEEEv20rocsparse_direction_20rocsparse_operation_iiNS_24const_host_device_scalarIT3_EEPKiS9_PKS6_iiSB_lS7_PS6_l21rocsparse_index_base_b,"axG",@progbits,_ZN9rocsparseL29gebsrmm_small_blockdim_kernelILi1ELi4ELi4ELi16E21rocsparse_complex_numIfEEEv20rocsparse_direction_20rocsparse_operation_iiNS_24const_host_device_scalarIT3_EEPKiS9_PKS6_iiSB_lS7_PS6_l21rocsparse_index_base_b,comdat
.Lfunc_end26:
	.size	_ZN9rocsparseL29gebsrmm_small_blockdim_kernelILi1ELi4ELi4ELi16E21rocsparse_complex_numIfEEEv20rocsparse_direction_20rocsparse_operation_iiNS_24const_host_device_scalarIT3_EEPKiS9_PKS6_iiSB_lS7_PS6_l21rocsparse_index_base_b, .Lfunc_end26-_ZN9rocsparseL29gebsrmm_small_blockdim_kernelILi1ELi4ELi4ELi16E21rocsparse_complex_numIfEEEv20rocsparse_direction_20rocsparse_operation_iiNS_24const_host_device_scalarIT3_EEPKiS9_PKS6_iiSB_lS7_PS6_l21rocsparse_index_base_b
                                        ; -- End function
	.section	.AMDGPU.csdata,"",@progbits
; Kernel info:
; codeLenInByte = 1340
; NumSgprs: 40
; NumVgprs: 38
; NumAgprs: 0
; TotalNumVgprs: 38
; ScratchSize: 0
; MemoryBound: 0
; FloatMode: 240
; IeeeMode: 1
; LDSByteSize: 640 bytes/workgroup (compile time only)
; SGPRBlocks: 4
; VGPRBlocks: 4
; NumSGPRsForWavesPerEU: 40
; NumVGPRsForWavesPerEU: 38
; AccumOffset: 40
; Occupancy: 8
; WaveLimiterHint : 1
; COMPUTE_PGM_RSRC2:SCRATCH_EN: 0
; COMPUTE_PGM_RSRC2:USER_SGPR: 6
; COMPUTE_PGM_RSRC2:TRAP_HANDLER: 0
; COMPUTE_PGM_RSRC2:TGID_X_EN: 1
; COMPUTE_PGM_RSRC2:TGID_Y_EN: 1
; COMPUTE_PGM_RSRC2:TGID_Z_EN: 0
; COMPUTE_PGM_RSRC2:TIDIG_COMP_CNT: 1
; COMPUTE_PGM_RSRC3_GFX90A:ACCUM_OFFSET: 9
; COMPUTE_PGM_RSRC3_GFX90A:TG_SPLIT: 0
	.section	.text._ZN9rocsparseL29gebsrmm_small_blockdim_kernelILi2ELi1ELi2ELi16E21rocsparse_complex_numIfEEEv20rocsparse_direction_20rocsparse_operation_iiNS_24const_host_device_scalarIT3_EEPKiS9_PKS6_iiSB_lS7_PS6_l21rocsparse_index_base_b,"axG",@progbits,_ZN9rocsparseL29gebsrmm_small_blockdim_kernelILi2ELi1ELi2ELi16E21rocsparse_complex_numIfEEEv20rocsparse_direction_20rocsparse_operation_iiNS_24const_host_device_scalarIT3_EEPKiS9_PKS6_iiSB_lS7_PS6_l21rocsparse_index_base_b,comdat
	.globl	_ZN9rocsparseL29gebsrmm_small_blockdim_kernelILi2ELi1ELi2ELi16E21rocsparse_complex_numIfEEEv20rocsparse_direction_20rocsparse_operation_iiNS_24const_host_device_scalarIT3_EEPKiS9_PKS6_iiSB_lS7_PS6_l21rocsparse_index_base_b ; -- Begin function _ZN9rocsparseL29gebsrmm_small_blockdim_kernelILi2ELi1ELi2ELi16E21rocsparse_complex_numIfEEEv20rocsparse_direction_20rocsparse_operation_iiNS_24const_host_device_scalarIT3_EEPKiS9_PKS6_iiSB_lS7_PS6_l21rocsparse_index_base_b
	.p2align	8
	.type	_ZN9rocsparseL29gebsrmm_small_blockdim_kernelILi2ELi1ELi2ELi16E21rocsparse_complex_numIfEEEv20rocsparse_direction_20rocsparse_operation_iiNS_24const_host_device_scalarIT3_EEPKiS9_PKS6_iiSB_lS7_PS6_l21rocsparse_index_base_b,@function
_ZN9rocsparseL29gebsrmm_small_blockdim_kernelILi2ELi1ELi2ELi16E21rocsparse_complex_numIfEEEv20rocsparse_direction_20rocsparse_operation_iiNS_24const_host_device_scalarIT3_EEPKiS9_PKS6_iiSB_lS7_PS6_l21rocsparse_index_base_b: ; @_ZN9rocsparseL29gebsrmm_small_blockdim_kernelILi2ELi1ELi2ELi16E21rocsparse_complex_numIfEEEv20rocsparse_direction_20rocsparse_operation_iiNS_24const_host_device_scalarIT3_EEPKiS9_PKS6_iiSB_lS7_PS6_l21rocsparse_index_base_b
; %bb.0:
	s_load_dwordx2 s[20:21], s[4:5], 0x60
	s_load_dwordx2 s[2:3], s[4:5], 0x10
	s_waitcnt lgkmcnt(0)
	s_bitcmp1_b32 s21, 0
	s_cselect_b64 s[0:1], -1, 0
	s_xor_b64 s[12:13], s[0:1], -1
	s_and_b64 vcc, exec, s[0:1]
	v_mov_b32_e32 v2, s2
	s_cbranch_vccnz .LBB27_2
; %bb.1:
	v_pk_mov_b32 v[2:3], s[2:3], s[2:3] op_sel:[0,1]
	flat_load_dword v2, v[2:3]
.LBB27_2:
	s_load_dwordx4 s[8:11], s[4:5], 0x40
	v_cndmask_b32_e64 v1, 0, 1, s[12:13]
	v_cmp_ne_u32_e64 s[0:1], 1, v1
	s_andn2_b64 vcc, exec, s[12:13]
	v_mov_b32_e32 v3, s3
	s_cbranch_vccz .LBB27_23
; %bb.3:
	s_and_b64 vcc, exec, s[0:1]
	s_waitcnt lgkmcnt(0)
	v_mov_b32_e32 v4, s10
	s_cbranch_vccz .LBB27_24
.LBB27_4:
	s_and_b64 vcc, exec, s[0:1]
	v_mov_b32_e32 v5, s11
	s_cbranch_vccnz .LBB27_6
.LBB27_5:
	v_pk_mov_b32 v[6:7], s[10:11], s[10:11] op_sel:[0,1]
	flat_load_dword v5, v[6:7] offset:4
.LBB27_6:
	s_waitcnt vmcnt(0)
	v_and_b32_e32 v1, 0x7fffffff, v2
	v_cmp_eq_u32_e32 vcc, 0, v1
	v_cmp_eq_f32_e64 s[0:1], 0, v3
	s_and_b64 s[10:11], vcc, s[0:1]
	s_mov_b64 s[0:1], -1
	s_and_saveexec_b64 s[2:3], s[10:11]
	s_cbranch_execz .LBB27_8
; %bb.7:
	s_waitcnt lgkmcnt(0)
	v_and_b32_e32 v1, 0x7fffffff, v5
	v_cmp_neq_f32_e32 vcc, 1.0, v4
	v_cmp_ne_u32_e64 s[0:1], 0, v1
	s_or_b64 s[0:1], vcc, s[0:1]
	s_orn2_b64 s[0:1], s[0:1], exec
.LBB27_8:
	s_or_b64 exec, exec, s[2:3]
	s_and_saveexec_b64 s[2:3], s[0:1]
	s_cbranch_execz .LBB27_30
; %bb.9:
	s_load_dwordx4 s[16:19], s[4:5], 0x4
	s_mov_b32 s24, 0
	s_mov_b32 s21, 0
	s_waitcnt lgkmcnt(0)
	s_cmp_lt_i32 s6, s17
	s_cselect_b64 s[22:23], -1, 0
	s_cmp_ge_i32 s6, s17
	s_cbranch_scc1 .LBB27_11
; %bb.10:
	s_load_dwordx2 s[2:3], s[4:5], 0x18
	s_mov_b32 s0, s7
	s_ashr_i32 s7, s6, 31
	s_lshl_b64 s[10:11], s[6:7], 2
	s_mov_b32 s7, s0
	s_waitcnt lgkmcnt(0)
	s_add_u32 s0, s2, s10
	s_addc_u32 s1, s3, s11
	s_load_dwordx2 s[0:1], s[0:1], 0x0
	s_waitcnt lgkmcnt(0)
	s_sub_i32 s24, s0, s20
	s_sub_i32 s21, s1, s20
.LBB27_11:
	s_load_dwordx2 s[10:11], s[4:5], 0x50
	v_bfe_u32 v8, v0, 10, 10
	v_and_b32_e32 v12, 0x3ff, v0
	v_lshl_add_u32 v6, s7, 4, v8
	v_mov_b32_e32 v1, 0
	v_ashrrev_i32_e32 v7, 31, v6
	v_cmp_gt_i32_e64 s[0:1], s18, v6
	v_cmp_gt_u32_e64 s[2:3], 2, v12
	s_cmp_ge_i32 s24, s21
	v_mov_b32_e32 v0, v1
	s_cbranch_scc1 .LBB27_25
; %bb.12:
	s_load_dwordx4 s[12:15], s[4:5], 0x20
	s_load_dwordx2 s[28:29], s[4:5], 0x38
	v_cmp_ne_u32_e32 vcc, 0, v12
	s_xor_b64 s[18:19], s[0:1], -1
	s_or_b64 s[18:19], vcc, s[18:19]
	v_cmp_eq_u32_e32 vcc, 0, v8
	v_lshlrev_b64 v[0:1], 3, v[6:7]
	s_and_b64 s[26:27], s[2:3], vcc
	s_waitcnt lgkmcnt(0)
	v_mov_b32_e32 v9, s29
	v_add_co_u32_e32 v13, vcc, s28, v0
	v_addc_co_u32_e32 v14, vcc, v9, v1, vcc
	v_mul_lo_u32 v10, v7, s8
	v_mul_lo_u32 v11, v6, s9
	v_mad_u64_u32 v[0:1], s[30:31], v6, s8, 0
	v_add3_u32 v1, v1, v11, v10
	s_cmpk_lg_i32 s16, 0x6f
	s_cselect_b64 s[16:17], -1, 0
	v_lshlrev_b64 v[0:1], 3, v[0:1]
	s_ashr_i32 s25, s24, 31
	v_lshlrev_b32_e32 v10, 1, v8
	v_add_co_u32_e32 v16, vcc, s28, v0
	s_lshl_b64 s[28:29], s[24:25], 2
	v_add_lshl_u32 v15, v10, v12, 3
	v_mov_b32_e32 v0, 0x100
	s_add_u32 s12, s12, s28
	v_mov_b32_e32 v10, 0
	v_addc_co_u32_e32 v17, vcc, v9, v1, vcc
	v_add_u32_e32 v18, 0x100, v15
	v_lshl_add_u32 v19, v12, 3, v0
	v_lshlrev_b32_e32 v20, 4, v8
	s_addc_u32 s13, s13, s29
	v_lshl_add_u32 v8, s24, 1, v12
	v_mov_b32_e32 v0, 0
	v_mov_b32_e32 v1, v10
	s_branch .LBB27_14
.LBB27_13:                              ;   in Loop: Header=BB27_14 Depth=1
	s_or_b64 exec, exec, s[28:29]
	s_waitcnt lgkmcnt(0)
	; wave barrier
	s_waitcnt lgkmcnt(0)
	ds_read_b64 v[22:23], v20
	ds_read_b64 v[24:25], v19
	s_add_i32 s24, s24, 1
	s_add_u32 s12, s12, 4
	s_addc_u32 s13, s13, 0
	s_cmp_ge_i32 s24, s21
	s_waitcnt lgkmcnt(0)
	v_pk_fma_f32 v[0:1], v[24:25], v[22:23], v[0:1] op_sel_hi:[1,0,1]
	v_pk_fma_f32 v[0:1], v[24:25], v[22:23], v[0:1] op_sel:[1,1,0] op_sel_hi:[0,1,1] neg_lo:[1,0,0]
	v_add_u32_e32 v8, 2, v8
	s_waitcnt lgkmcnt(0)
	; wave barrier
	s_cbranch_scc1 .LBB27_25
.LBB27_14:                              ; =>This Inner Loop Header: Depth=1
	s_and_saveexec_b64 s[28:29], s[18:19]
	s_xor_b64 s[28:29], exec, s[28:29]
	s_cbranch_execz .LBB27_16
; %bb.15:                               ;   in Loop: Header=BB27_14 Depth=1
	v_mov_b32_e32 v11, v10
	ds_write_b64 v15, v[10:11]
.LBB27_16:                              ;   in Loop: Header=BB27_14 Depth=1
	s_andn2_saveexec_b64 s[28:29], s[28:29]
	s_cbranch_execz .LBB27_21
; %bb.17:                               ;   in Loop: Header=BB27_14 Depth=1
	s_load_dword s7, s[12:13], 0x0
	s_mov_b64 s[34:35], -1
	s_and_b64 vcc, exec, s[16:17]
	s_waitcnt lgkmcnt(0)
	s_sub_i32 s30, s7, s20
	s_ashr_i32 s31, s30, 31
	s_cbranch_vccz .LBB27_19
; %bb.18:                               ;   in Loop: Header=BB27_14 Depth=1
	s_mul_i32 s7, s30, s9
	s_mul_hi_u32 s25, s30, s8
	s_add_i32 s7, s25, s7
	s_mul_i32 s25, s31, s8
	s_add_i32 s35, s7, s25
	s_mul_i32 s34, s30, s8
	s_lshl_b64 s[34:35], s[34:35], 3
	v_mov_b32_e32 v9, s35
	v_add_co_u32_e32 v22, vcc, s34, v13
	v_addc_co_u32_e32 v23, vcc, v14, v9, vcc
	global_load_dwordx2 v[22:23], v[22:23], off
	s_mov_b64 s[34:35], 0
	s_waitcnt vmcnt(0)
	ds_write_b64 v15, v[22:23]
.LBB27_19:                              ;   in Loop: Header=BB27_14 Depth=1
	s_andn2_b64 vcc, exec, s[34:35]
	s_cbranch_vccnz .LBB27_21
; %bb.20:                               ;   in Loop: Header=BB27_14 Depth=1
	s_lshl_b64 s[30:31], s[30:31], 3
	v_mov_b32_e32 v9, s31
	v_add_co_u32_e32 v22, vcc, s30, v16
	v_addc_co_u32_e32 v23, vcc, v17, v9, vcc
	global_load_dwordx2 v[22:23], v[22:23], off
	s_waitcnt vmcnt(0)
	ds_write_b64 v15, v[22:23]
.LBB27_21:                              ;   in Loop: Header=BB27_14 Depth=1
	s_or_b64 exec, exec, s[28:29]
	s_and_saveexec_b64 s[28:29], s[26:27]
	s_cbranch_execz .LBB27_13
; %bb.22:                               ;   in Loop: Header=BB27_14 Depth=1
	v_ashrrev_i32_e32 v9, 31, v8
	v_lshlrev_b64 v[22:23], 3, v[8:9]
	v_mov_b32_e32 v9, s15
	v_add_co_u32_e32 v22, vcc, s14, v22
	v_addc_co_u32_e32 v23, vcc, v9, v23, vcc
	global_load_dwordx2 v[22:23], v[22:23], off
	s_waitcnt vmcnt(0)
	ds_write_b64 v18, v[22:23]
	s_branch .LBB27_13
.LBB27_23:
	v_pk_mov_b32 v[4:5], s[2:3], s[2:3] op_sel:[0,1]
	flat_load_dword v3, v[4:5] offset:4
	s_and_b64 vcc, exec, s[0:1]
	s_waitcnt lgkmcnt(0)
	v_mov_b32_e32 v4, s10
	s_cbranch_vccnz .LBB27_4
.LBB27_24:
	v_pk_mov_b32 v[4:5], s[10:11], s[10:11] op_sel:[0,1]
	flat_load_dword v4, v[4:5]
	s_and_b64 vcc, exec, s[0:1]
	v_mov_b32_e32 v5, s11
	s_cbranch_vccz .LBB27_5
	s_branch .LBB27_6
.LBB27_25:
	s_and_b64 s[0:1], s[2:3], s[0:1]
	s_and_b64 s[0:1], s[22:23], s[0:1]
	s_and_b64 exec, exec, s[0:1]
	s_cbranch_execz .LBB27_30
; %bb.26:
	s_load_dwordx2 s[0:1], s[4:5], 0x58
	v_lshl_add_u32 v8, s6, 1, v12
	s_waitcnt lgkmcnt(0)
	v_mul_lo_u32 v9, v7, s0
	v_mul_lo_u32 v10, v6, s1
	v_mad_u64_u32 v[6:7], s[0:1], v6, s0, 0
	v_add3_u32 v7, v7, v10, v9
	v_and_b32_e32 v9, 0x7fffffff, v4
	v_cmp_ne_u32_e32 vcc, 0, v9
	v_cmp_neq_f32_e64 s[0:1], 0, v5
	s_or_b64 s[0:1], vcc, s[0:1]
	v_ashrrev_i32_e32 v9, 31, v8
	v_lshlrev_b64 v[6:7], 3, v[6:7]
	s_and_saveexec_b64 s[2:3], s[0:1]
	s_xor_b64 s[0:1], exec, s[2:3]
	s_cbranch_execz .LBB27_28
; %bb.27:
	v_mov_b32_e32 v10, s11
	v_add_co_u32_e32 v11, vcc, s10, v6
	v_addc_co_u32_e32 v10, vcc, v10, v7, vcc
	v_lshlrev_b64 v[6:7], 3, v[8:9]
	v_add_co_u32_e32 v6, vcc, v11, v6
	v_addc_co_u32_e32 v7, vcc, v10, v7, vcc
	global_load_dwordx2 v[8:9], v[6:7], off
	v_xor_b32_e32 v10, 0x80000000, v3
	v_mov_b32_e32 v11, v2
	v_pk_mul_f32 v[10:11], v[0:1], v[10:11] op_sel:[1,0]
	v_pk_fma_f32 v[0:1], v[2:3], v[0:1], v[10:11] op_sel_hi:[1,0,1]
	v_xor_b32_e32 v12, 0x80000000, v5
	v_mov_b32_e32 v13, v4
                                        ; implicit-def: $vgpr3
	s_waitcnt vmcnt(0)
	v_pk_fma_f32 v[0:1], v[4:5], v[8:9], v[0:1] op_sel_hi:[1,0,1]
	v_pk_fma_f32 v[0:1], v[12:13], v[8:9], v[0:1] op_sel:[0,1,0]
	global_store_dwordx2 v[6:7], v[0:1], off
                                        ; implicit-def: $vgpr8
                                        ; implicit-def: $vgpr6_vgpr7
                                        ; implicit-def: $vgpr0_vgpr1
.LBB27_28:
	s_andn2_saveexec_b64 s[0:1], s[0:1]
	s_cbranch_execz .LBB27_30
; %bb.29:
	v_mov_b32_e32 v5, s11
	v_add_co_u32_e32 v10, vcc, s10, v6
	v_addc_co_u32_e32 v5, vcc, v5, v7, vcc
	v_lshlrev_b64 v[6:7], 3, v[8:9]
	v_add_co_u32_e32 v6, vcc, v10, v6
	v_xor_b32_e32 v4, 0x80000000, v3
	v_addc_co_u32_e32 v7, vcc, v5, v7, vcc
	v_mov_b32_e32 v5, v2
	v_pk_mul_f32 v[4:5], v[0:1], v[4:5] op_sel:[1,0]
	v_pk_fma_f32 v[0:1], v[2:3], v[0:1], v[4:5] op_sel_hi:[1,0,1]
	global_store_dwordx2 v[6:7], v[0:1], off
.LBB27_30:
	s_endpgm
	.section	.rodata,"a",@progbits
	.p2align	6, 0x0
	.amdhsa_kernel _ZN9rocsparseL29gebsrmm_small_blockdim_kernelILi2ELi1ELi2ELi16E21rocsparse_complex_numIfEEEv20rocsparse_direction_20rocsparse_operation_iiNS_24const_host_device_scalarIT3_EEPKiS9_PKS6_iiSB_lS7_PS6_l21rocsparse_index_base_b
		.amdhsa_group_segment_fixed_size 288
		.amdhsa_private_segment_fixed_size 0
		.amdhsa_kernarg_size 104
		.amdhsa_user_sgpr_count 6
		.amdhsa_user_sgpr_private_segment_buffer 1
		.amdhsa_user_sgpr_dispatch_ptr 0
		.amdhsa_user_sgpr_queue_ptr 0
		.amdhsa_user_sgpr_kernarg_segment_ptr 1
		.amdhsa_user_sgpr_dispatch_id 0
		.amdhsa_user_sgpr_flat_scratch_init 0
		.amdhsa_user_sgpr_kernarg_preload_length 0
		.amdhsa_user_sgpr_kernarg_preload_offset 0
		.amdhsa_user_sgpr_private_segment_size 0
		.amdhsa_uses_dynamic_stack 0
		.amdhsa_system_sgpr_private_segment_wavefront_offset 0
		.amdhsa_system_sgpr_workgroup_id_x 1
		.amdhsa_system_sgpr_workgroup_id_y 1
		.amdhsa_system_sgpr_workgroup_id_z 0
		.amdhsa_system_sgpr_workgroup_info 0
		.amdhsa_system_vgpr_workitem_id 1
		.amdhsa_next_free_vgpr 26
		.amdhsa_next_free_sgpr 36
		.amdhsa_accum_offset 28
		.amdhsa_reserve_vcc 1
		.amdhsa_reserve_flat_scratch 0
		.amdhsa_float_round_mode_32 0
		.amdhsa_float_round_mode_16_64 0
		.amdhsa_float_denorm_mode_32 3
		.amdhsa_float_denorm_mode_16_64 3
		.amdhsa_dx10_clamp 1
		.amdhsa_ieee_mode 1
		.amdhsa_fp16_overflow 0
		.amdhsa_tg_split 0
		.amdhsa_exception_fp_ieee_invalid_op 0
		.amdhsa_exception_fp_denorm_src 0
		.amdhsa_exception_fp_ieee_div_zero 0
		.amdhsa_exception_fp_ieee_overflow 0
		.amdhsa_exception_fp_ieee_underflow 0
		.amdhsa_exception_fp_ieee_inexact 0
		.amdhsa_exception_int_div_zero 0
	.end_amdhsa_kernel
	.section	.text._ZN9rocsparseL29gebsrmm_small_blockdim_kernelILi2ELi1ELi2ELi16E21rocsparse_complex_numIfEEEv20rocsparse_direction_20rocsparse_operation_iiNS_24const_host_device_scalarIT3_EEPKiS9_PKS6_iiSB_lS7_PS6_l21rocsparse_index_base_b,"axG",@progbits,_ZN9rocsparseL29gebsrmm_small_blockdim_kernelILi2ELi1ELi2ELi16E21rocsparse_complex_numIfEEEv20rocsparse_direction_20rocsparse_operation_iiNS_24const_host_device_scalarIT3_EEPKiS9_PKS6_iiSB_lS7_PS6_l21rocsparse_index_base_b,comdat
.Lfunc_end27:
	.size	_ZN9rocsparseL29gebsrmm_small_blockdim_kernelILi2ELi1ELi2ELi16E21rocsparse_complex_numIfEEEv20rocsparse_direction_20rocsparse_operation_iiNS_24const_host_device_scalarIT3_EEPKiS9_PKS6_iiSB_lS7_PS6_l21rocsparse_index_base_b, .Lfunc_end27-_ZN9rocsparseL29gebsrmm_small_blockdim_kernelILi2ELi1ELi2ELi16E21rocsparse_complex_numIfEEEv20rocsparse_direction_20rocsparse_operation_iiNS_24const_host_device_scalarIT3_EEPKiS9_PKS6_iiSB_lS7_PS6_l21rocsparse_index_base_b
                                        ; -- End function
	.section	.AMDGPU.csdata,"",@progbits
; Kernel info:
; codeLenInByte = 1248
; NumSgprs: 40
; NumVgprs: 26
; NumAgprs: 0
; TotalNumVgprs: 26
; ScratchSize: 0
; MemoryBound: 0
; FloatMode: 240
; IeeeMode: 1
; LDSByteSize: 288 bytes/workgroup (compile time only)
; SGPRBlocks: 4
; VGPRBlocks: 3
; NumSGPRsForWavesPerEU: 40
; NumVGPRsForWavesPerEU: 26
; AccumOffset: 28
; Occupancy: 8
; WaveLimiterHint : 1
; COMPUTE_PGM_RSRC2:SCRATCH_EN: 0
; COMPUTE_PGM_RSRC2:USER_SGPR: 6
; COMPUTE_PGM_RSRC2:TRAP_HANDLER: 0
; COMPUTE_PGM_RSRC2:TGID_X_EN: 1
; COMPUTE_PGM_RSRC2:TGID_Y_EN: 1
; COMPUTE_PGM_RSRC2:TGID_Z_EN: 0
; COMPUTE_PGM_RSRC2:TIDIG_COMP_CNT: 1
; COMPUTE_PGM_RSRC3_GFX90A:ACCUM_OFFSET: 6
; COMPUTE_PGM_RSRC3_GFX90A:TG_SPLIT: 0
	.section	.text._ZN9rocsparseL29gebsrmm_small_blockdim_kernelILi2ELi3ELi3ELi16E21rocsparse_complex_numIfEEEv20rocsparse_direction_20rocsparse_operation_iiNS_24const_host_device_scalarIT3_EEPKiS9_PKS6_iiSB_lS7_PS6_l21rocsparse_index_base_b,"axG",@progbits,_ZN9rocsparseL29gebsrmm_small_blockdim_kernelILi2ELi3ELi3ELi16E21rocsparse_complex_numIfEEEv20rocsparse_direction_20rocsparse_operation_iiNS_24const_host_device_scalarIT3_EEPKiS9_PKS6_iiSB_lS7_PS6_l21rocsparse_index_base_b,comdat
	.globl	_ZN9rocsparseL29gebsrmm_small_blockdim_kernelILi2ELi3ELi3ELi16E21rocsparse_complex_numIfEEEv20rocsparse_direction_20rocsparse_operation_iiNS_24const_host_device_scalarIT3_EEPKiS9_PKS6_iiSB_lS7_PS6_l21rocsparse_index_base_b ; -- Begin function _ZN9rocsparseL29gebsrmm_small_blockdim_kernelILi2ELi3ELi3ELi16E21rocsparse_complex_numIfEEEv20rocsparse_direction_20rocsparse_operation_iiNS_24const_host_device_scalarIT3_EEPKiS9_PKS6_iiSB_lS7_PS6_l21rocsparse_index_base_b
	.p2align	8
	.type	_ZN9rocsparseL29gebsrmm_small_blockdim_kernelILi2ELi3ELi3ELi16E21rocsparse_complex_numIfEEEv20rocsparse_direction_20rocsparse_operation_iiNS_24const_host_device_scalarIT3_EEPKiS9_PKS6_iiSB_lS7_PS6_l21rocsparse_index_base_b,@function
_ZN9rocsparseL29gebsrmm_small_blockdim_kernelILi2ELi3ELi3ELi16E21rocsparse_complex_numIfEEEv20rocsparse_direction_20rocsparse_operation_iiNS_24const_host_device_scalarIT3_EEPKiS9_PKS6_iiSB_lS7_PS6_l21rocsparse_index_base_b: ; @_ZN9rocsparseL29gebsrmm_small_blockdim_kernelILi2ELi3ELi3ELi16E21rocsparse_complex_numIfEEEv20rocsparse_direction_20rocsparse_operation_iiNS_24const_host_device_scalarIT3_EEPKiS9_PKS6_iiSB_lS7_PS6_l21rocsparse_index_base_b
; %bb.0:
	s_load_dwordx2 s[20:21], s[4:5], 0x60
	s_load_dwordx2 s[2:3], s[4:5], 0x10
	s_waitcnt lgkmcnt(0)
	s_bitcmp1_b32 s21, 0
	s_cselect_b64 s[0:1], -1, 0
	s_xor_b64 s[8:9], s[0:1], -1
	s_and_b64 vcc, exec, s[0:1]
	v_mov_b32_e32 v2, s2
	s_cbranch_vccnz .LBB28_2
; %bb.1:
	v_pk_mov_b32 v[2:3], s[2:3], s[2:3] op_sel:[0,1]
	flat_load_dword v2, v[2:3]
.LBB28_2:
	s_load_dwordx4 s[12:15], s[4:5], 0x40
	v_cndmask_b32_e64 v1, 0, 1, s[8:9]
	v_cmp_ne_u32_e64 s[0:1], 1, v1
	s_andn2_b64 vcc, exec, s[8:9]
	v_mov_b32_e32 v3, s3
	s_cbranch_vccz .LBB28_23
; %bb.3:
	s_and_b64 vcc, exec, s[0:1]
	s_waitcnt lgkmcnt(0)
	v_mov_b32_e32 v4, s14
	s_cbranch_vccz .LBB28_24
.LBB28_4:
	s_and_b64 vcc, exec, s[0:1]
	v_mov_b32_e32 v5, s15
	s_cbranch_vccnz .LBB28_6
.LBB28_5:
	v_pk_mov_b32 v[6:7], s[14:15], s[14:15] op_sel:[0,1]
	flat_load_dword v5, v[6:7] offset:4
.LBB28_6:
	s_waitcnt vmcnt(0)
	v_and_b32_e32 v1, 0x7fffffff, v2
	v_cmp_eq_u32_e32 vcc, 0, v1
	v_cmp_eq_f32_e64 s[0:1], 0, v3
	s_and_b64 s[8:9], vcc, s[0:1]
	s_mov_b64 s[0:1], -1
	s_and_saveexec_b64 s[2:3], s[8:9]
	s_cbranch_execz .LBB28_8
; %bb.7:
	s_waitcnt lgkmcnt(0)
	v_and_b32_e32 v1, 0x7fffffff, v5
	v_cmp_neq_f32_e32 vcc, 1.0, v4
	v_cmp_ne_u32_e64 s[0:1], 0, v1
	s_or_b64 s[0:1], vcc, s[0:1]
	s_orn2_b64 s[0:1], s[0:1], exec
.LBB28_8:
	s_or_b64 exec, exec, s[2:3]
	s_and_saveexec_b64 s[2:3], s[0:1]
	s_cbranch_execz .LBB28_30
; %bb.9:
	s_load_dwordx4 s[8:11], s[4:5], 0x0
	s_mov_b32 s24, 0
	s_mov_b32 s21, 0
	s_waitcnt lgkmcnt(0)
	s_cmp_lt_i32 s6, s10
	s_cselect_b64 s[22:23], -1, 0
	s_cmp_ge_i32 s6, s10
	s_cbranch_scc1 .LBB28_11
; %bb.10:
	s_load_dwordx2 s[2:3], s[4:5], 0x18
	s_mov_b32 s0, s7
	s_ashr_i32 s7, s6, 31
	s_lshl_b64 s[14:15], s[6:7], 2
	s_mov_b32 s7, s0
	s_waitcnt lgkmcnt(0)
	s_add_u32 s0, s2, s14
	s_addc_u32 s1, s3, s15
	s_load_dwordx2 s[0:1], s[0:1], 0x0
	s_waitcnt lgkmcnt(0)
	s_sub_i32 s24, s0, s20
	s_sub_i32 s21, s1, s20
.LBB28_11:
	s_load_dwordx2 s[14:15], s[4:5], 0x50
	v_bfe_u32 v8, v0, 10, 10
	v_and_b32_e32 v10, 0x3ff, v0
	v_lshl_add_u32 v0, s7, 4, v8
	v_mov_b32_e32 v7, 0
	v_ashrrev_i32_e32 v1, 31, v0
	v_cmp_gt_i32_e64 s[0:1], s11, v0
	v_cmp_gt_u32_e64 s[2:3], 2, v10
	s_cmp_ge_i32 s24, s21
	v_mov_b32_e32 v6, v7
	s_cbranch_scc1 .LBB28_25
; %bb.12:
	s_load_dwordx4 s[16:19], s[4:5], 0x20
	s_load_dwordx2 s[30:31], s[4:5], 0x38
	v_cmp_lt_u32_e32 vcc, 2, v10
	s_xor_b64 s[10:11], s[0:1], -1
	s_or_b64 s[10:11], vcc, s[10:11]
	v_cmp_gt_u32_e32 vcc, 3, v8
	v_lshlrev_b64 v[6:7], 3, v[0:1]
	s_and_b64 s[26:27], s[2:3], vcc
	s_waitcnt lgkmcnt(0)
	v_mov_b32_e32 v9, s31
	v_add_co_u32_e32 v11, vcc, s30, v6
	v_addc_co_u32_e32 v12, vcc, v9, v7, vcc
	v_mul_lo_u32 v13, v1, s12
	v_mul_lo_u32 v14, v0, s13
	v_mad_u64_u32 v[6:7], s[28:29], v0, s12, 0
	v_add3_u32 v7, v7, v14, v13
	v_lshlrev_b64 v[6:7], 3, v[6:7]
	s_cmpk_lg_i32 s9, 0x6f
	v_add_co_u32_e32 v6, vcc, s30, v6
	s_cselect_b64 s[28:29], -1, 0
	v_addc_co_u32_e32 v7, vcc, v9, v7, vcc
	v_lshlrev_b32_e32 v9, 3, v10
	s_cmp_eq_u32 s8, 0
	v_add_co_u32_e32 v14, vcc, v6, v9
	s_cselect_b64 s[8:9], -1, 0
	s_ashr_i32 s25, s24, 31
	v_mul_u32_u24_e32 v18, 3, v8
	v_addc_co_u32_e32 v15, vcc, 0, v7, vcc
	v_mul_u32_u24_e32 v7, 3, v10
	s_lshl_b64 s[30:31], s[24:25], 2
	s_mul_i32 s7, s24, 6
	v_add_lshl_u32 v13, v18, v10, 3
	v_lshlrev_b32_e32 v6, 1, v8
	s_add_u32 s16, s16, s30
	v_add3_u32 v20, v7, v8, s7
	v_mov_b32_e32 v8, 0
	v_add_u32_e32 v16, 0x180, v13
	v_add_u32_e32 v17, 0x180, v9
	v_lshlrev_b32_e32 v18, 3, v18
	s_addc_u32 s17, s17, s31
	v_add3_u32 v19, v10, s7, v6
	v_mov_b32_e32 v6, 0
	v_mov_b32_e32 v7, v8
	s_branch .LBB28_14
.LBB28_13:                              ;   in Loop: Header=BB28_14 Depth=1
	s_or_b64 exec, exec, s[30:31]
	s_waitcnt lgkmcnt(0)
	; wave barrier
	s_waitcnt lgkmcnt(0)
	ds_read2_b64 v[22:25], v17 offset1:3
	ds_read2_b64 v[26:29], v18 offset1:1
	ds_read_b64 v[30:31], v18 offset:16
	ds_read_b64 v[32:33], v17 offset:48
	s_add_i32 s24, s24, 1
	s_add_u32 s16, s16, 4
	s_waitcnt lgkmcnt(2)
	v_pk_fma_f32 v[6:7], v[22:23], v[26:27], v[6:7] op_sel_hi:[1,0,1]
	v_pk_fma_f32 v[6:7], v[22:23], v[26:27], v[6:7] op_sel:[1,1,0] op_sel_hi:[0,1,1] neg_lo:[1,0,0]
	v_pk_fma_f32 v[6:7], v[24:25], v[28:29], v[6:7] op_sel_hi:[1,0,1]
	v_mov_b32_e32 v22, v29
	v_pk_fma_f32 v[6:7], v[24:25], v[22:23], v[6:7] op_sel:[1,0,0] op_sel_hi:[0,0,1] neg_lo:[1,0,0]
	s_waitcnt lgkmcnt(0)
	v_pk_fma_f32 v[6:7], v[32:33], v[30:31], v[6:7] op_sel_hi:[1,0,1]
	s_addc_u32 s17, s17, 0
	v_pk_fma_f32 v[6:7], v[32:33], v[30:31], v[6:7] op_sel:[1,1,0] op_sel_hi:[0,1,1] neg_lo:[1,0,0]
	v_add_u32_e32 v19, 6, v19
	s_cmp_ge_i32 s24, s21
	v_add_u32_e32 v20, 6, v20
	s_waitcnt lgkmcnt(0)
	; wave barrier
	s_cbranch_scc1 .LBB28_25
.LBB28_14:                              ; =>This Inner Loop Header: Depth=1
	s_and_saveexec_b64 s[30:31], s[10:11]
	s_xor_b64 s[30:31], exec, s[30:31]
	s_cbranch_execz .LBB28_16
; %bb.15:                               ;   in Loop: Header=BB28_14 Depth=1
	v_mov_b32_e32 v9, v8
	ds_write_b64 v13, v[8:9]
.LBB28_16:                              ;   in Loop: Header=BB28_14 Depth=1
	s_andn2_saveexec_b64 s[30:31], s[30:31]
	s_cbranch_execz .LBB28_21
; %bb.17:                               ;   in Loop: Header=BB28_14 Depth=1
	s_load_dword s7, s[16:17], 0x0
	s_mov_b64 s[36:37], -1
	s_and_b64 vcc, exec, s[28:29]
	s_waitcnt lgkmcnt(0)
	s_sub_i32 s7, s7, s20
	s_mul_i32 s34, s7, 3
	s_cbranch_vccz .LBB28_19
; %bb.18:                               ;   in Loop: Header=BB28_14 Depth=1
	v_add_u32_e32 v9, s34, v10
	v_ashrrev_i32_e32 v21, 31, v9
	v_mul_lo_u32 v21, v21, s12
	v_mul_lo_u32 v24, v9, s13
	v_mad_u64_u32 v[22:23], s[36:37], v9, s12, 0
	v_add3_u32 v23, v23, v24, v21
	v_lshlrev_b64 v[22:23], 3, v[22:23]
	v_add_co_u32_e32 v22, vcc, v11, v22
	v_addc_co_u32_e32 v23, vcc, v12, v23, vcc
	global_load_dwordx2 v[22:23], v[22:23], off
	s_mov_b64 s[36:37], 0
	s_waitcnt vmcnt(0)
	ds_write_b64 v13, v[22:23]
.LBB28_19:                              ;   in Loop: Header=BB28_14 Depth=1
	s_andn2_b64 vcc, exec, s[36:37]
	s_cbranch_vccnz .LBB28_21
; %bb.20:                               ;   in Loop: Header=BB28_14 Depth=1
	s_ashr_i32 s35, s34, 31
	s_lshl_b64 s[34:35], s[34:35], 3
	v_mov_b32_e32 v9, s35
	v_add_co_u32_e32 v22, vcc, s34, v14
	v_addc_co_u32_e32 v23, vcc, v15, v9, vcc
	global_load_dwordx2 v[22:23], v[22:23], off
	s_waitcnt vmcnt(0)
	ds_write_b64 v13, v[22:23]
.LBB28_21:                              ;   in Loop: Header=BB28_14 Depth=1
	s_or_b64 exec, exec, s[30:31]
	s_and_saveexec_b64 s[30:31], s[26:27]
	s_cbranch_execz .LBB28_13
; %bb.22:                               ;   in Loop: Header=BB28_14 Depth=1
	v_cndmask_b32_e64 v22, v19, v20, s[8:9]
	v_ashrrev_i32_e32 v23, 31, v22
	v_lshlrev_b64 v[22:23], 3, v[22:23]
	v_mov_b32_e32 v9, s19
	v_add_co_u32_e32 v22, vcc, s18, v22
	v_addc_co_u32_e32 v23, vcc, v9, v23, vcc
	global_load_dwordx2 v[22:23], v[22:23], off
	s_waitcnt vmcnt(0)
	ds_write_b64 v16, v[22:23]
	s_branch .LBB28_13
.LBB28_23:
	v_pk_mov_b32 v[4:5], s[2:3], s[2:3] op_sel:[0,1]
	flat_load_dword v3, v[4:5] offset:4
	s_and_b64 vcc, exec, s[0:1]
	s_waitcnt lgkmcnt(0)
	v_mov_b32_e32 v4, s14
	s_cbranch_vccnz .LBB28_4
.LBB28_24:
	v_pk_mov_b32 v[4:5], s[14:15], s[14:15] op_sel:[0,1]
	flat_load_dword v4, v[4:5]
	s_and_b64 vcc, exec, s[0:1]
	v_mov_b32_e32 v5, s15
	s_cbranch_vccz .LBB28_5
	s_branch .LBB28_6
.LBB28_25:
	s_and_b64 s[0:1], s[2:3], s[0:1]
	s_and_b64 s[0:1], s[22:23], s[0:1]
	s_and_b64 exec, exec, s[0:1]
	s_cbranch_execz .LBB28_30
; %bb.26:
	s_load_dwordx2 s[0:1], s[4:5], 0x58
	v_lshl_add_u32 v8, s6, 1, v10
	s_waitcnt lgkmcnt(0)
	v_mul_lo_u32 v9, v1, s0
	v_mul_lo_u32 v10, v0, s1
	v_mad_u64_u32 v[0:1], s[0:1], v0, s0, 0
	v_add3_u32 v1, v1, v10, v9
	v_and_b32_e32 v9, 0x7fffffff, v4
	v_cmp_ne_u32_e32 vcc, 0, v9
	v_cmp_neq_f32_e64 s[0:1], 0, v5
	s_or_b64 s[0:1], vcc, s[0:1]
	v_ashrrev_i32_e32 v9, 31, v8
	v_lshlrev_b64 v[0:1], 3, v[0:1]
	s_and_saveexec_b64 s[2:3], s[0:1]
	s_xor_b64 s[0:1], exec, s[2:3]
	s_cbranch_execz .LBB28_28
; %bb.27:
	v_mov_b32_e32 v10, s15
	v_add_co_u32_e32 v11, vcc, s14, v0
	v_addc_co_u32_e32 v10, vcc, v10, v1, vcc
	v_lshlrev_b64 v[0:1], 3, v[8:9]
	v_add_co_u32_e32 v0, vcc, v11, v0
	v_addc_co_u32_e32 v1, vcc, v10, v1, vcc
	global_load_dwordx2 v[8:9], v[0:1], off
	v_xor_b32_e32 v10, 0x80000000, v3
	v_mov_b32_e32 v11, v2
	v_pk_mul_f32 v[10:11], v[6:7], v[10:11] op_sel:[1,0]
	v_pk_fma_f32 v[2:3], v[2:3], v[6:7], v[10:11] op_sel_hi:[1,0,1]
	v_xor_b32_e32 v12, 0x80000000, v5
	v_mov_b32_e32 v13, v4
                                        ; implicit-def: $vgpr6_vgpr7
	s_waitcnt vmcnt(0)
	v_pk_fma_f32 v[2:3], v[4:5], v[8:9], v[2:3] op_sel_hi:[1,0,1]
	v_pk_fma_f32 v[2:3], v[12:13], v[8:9], v[2:3] op_sel:[0,1,0]
	global_store_dwordx2 v[0:1], v[2:3], off
                                        ; implicit-def: $vgpr3
                                        ; implicit-def: $vgpr8
                                        ; implicit-def: $vgpr0_vgpr1
.LBB28_28:
	s_andn2_saveexec_b64 s[0:1], s[0:1]
	s_cbranch_execz .LBB28_30
; %bb.29:
	v_mov_b32_e32 v5, s15
	v_add_co_u32_e32 v10, vcc, s14, v0
	v_addc_co_u32_e32 v5, vcc, v5, v1, vcc
	v_lshlrev_b64 v[0:1], 3, v[8:9]
	v_add_co_u32_e32 v0, vcc, v10, v0
	v_xor_b32_e32 v4, 0x80000000, v3
	v_addc_co_u32_e32 v1, vcc, v5, v1, vcc
	v_mov_b32_e32 v5, v2
	v_pk_mul_f32 v[4:5], v[6:7], v[4:5] op_sel:[1,0]
	v_pk_fma_f32 v[2:3], v[2:3], v[6:7], v[4:5] op_sel_hi:[1,0,1]
	global_store_dwordx2 v[0:1], v[2:3], off
.LBB28_30:
	s_endpgm
	.section	.rodata,"a",@progbits
	.p2align	6, 0x0
	.amdhsa_kernel _ZN9rocsparseL29gebsrmm_small_blockdim_kernelILi2ELi3ELi3ELi16E21rocsparse_complex_numIfEEEv20rocsparse_direction_20rocsparse_operation_iiNS_24const_host_device_scalarIT3_EEPKiS9_PKS6_iiSB_lS7_PS6_l21rocsparse_index_base_b
		.amdhsa_group_segment_fixed_size 456
		.amdhsa_private_segment_fixed_size 0
		.amdhsa_kernarg_size 104
		.amdhsa_user_sgpr_count 6
		.amdhsa_user_sgpr_private_segment_buffer 1
		.amdhsa_user_sgpr_dispatch_ptr 0
		.amdhsa_user_sgpr_queue_ptr 0
		.amdhsa_user_sgpr_kernarg_segment_ptr 1
		.amdhsa_user_sgpr_dispatch_id 0
		.amdhsa_user_sgpr_flat_scratch_init 0
		.amdhsa_user_sgpr_kernarg_preload_length 0
		.amdhsa_user_sgpr_kernarg_preload_offset 0
		.amdhsa_user_sgpr_private_segment_size 0
		.amdhsa_uses_dynamic_stack 0
		.amdhsa_system_sgpr_private_segment_wavefront_offset 0
		.amdhsa_system_sgpr_workgroup_id_x 1
		.amdhsa_system_sgpr_workgroup_id_y 1
		.amdhsa_system_sgpr_workgroup_id_z 0
		.amdhsa_system_sgpr_workgroup_info 0
		.amdhsa_system_vgpr_workitem_id 1
		.amdhsa_next_free_vgpr 34
		.amdhsa_next_free_sgpr 38
		.amdhsa_accum_offset 36
		.amdhsa_reserve_vcc 1
		.amdhsa_reserve_flat_scratch 0
		.amdhsa_float_round_mode_32 0
		.amdhsa_float_round_mode_16_64 0
		.amdhsa_float_denorm_mode_32 3
		.amdhsa_float_denorm_mode_16_64 3
		.amdhsa_dx10_clamp 1
		.amdhsa_ieee_mode 1
		.amdhsa_fp16_overflow 0
		.amdhsa_tg_split 0
		.amdhsa_exception_fp_ieee_invalid_op 0
		.amdhsa_exception_fp_denorm_src 0
		.amdhsa_exception_fp_ieee_div_zero 0
		.amdhsa_exception_fp_ieee_overflow 0
		.amdhsa_exception_fp_ieee_underflow 0
		.amdhsa_exception_fp_ieee_inexact 0
		.amdhsa_exception_int_div_zero 0
	.end_amdhsa_kernel
	.section	.text._ZN9rocsparseL29gebsrmm_small_blockdim_kernelILi2ELi3ELi3ELi16E21rocsparse_complex_numIfEEEv20rocsparse_direction_20rocsparse_operation_iiNS_24const_host_device_scalarIT3_EEPKiS9_PKS6_iiSB_lS7_PS6_l21rocsparse_index_base_b,"axG",@progbits,_ZN9rocsparseL29gebsrmm_small_blockdim_kernelILi2ELi3ELi3ELi16E21rocsparse_complex_numIfEEEv20rocsparse_direction_20rocsparse_operation_iiNS_24const_host_device_scalarIT3_EEPKiS9_PKS6_iiSB_lS7_PS6_l21rocsparse_index_base_b,comdat
.Lfunc_end28:
	.size	_ZN9rocsparseL29gebsrmm_small_blockdim_kernelILi2ELi3ELi3ELi16E21rocsparse_complex_numIfEEEv20rocsparse_direction_20rocsparse_operation_iiNS_24const_host_device_scalarIT3_EEPKiS9_PKS6_iiSB_lS7_PS6_l21rocsparse_index_base_b, .Lfunc_end28-_ZN9rocsparseL29gebsrmm_small_blockdim_kernelILi2ELi3ELi3ELi16E21rocsparse_complex_numIfEEEv20rocsparse_direction_20rocsparse_operation_iiNS_24const_host_device_scalarIT3_EEPKiS9_PKS6_iiSB_lS7_PS6_l21rocsparse_index_base_b
                                        ; -- End function
	.section	.AMDGPU.csdata,"",@progbits
; Kernel info:
; codeLenInByte = 1368
; NumSgprs: 42
; NumVgprs: 34
; NumAgprs: 0
; TotalNumVgprs: 34
; ScratchSize: 0
; MemoryBound: 0
; FloatMode: 240
; IeeeMode: 1
; LDSByteSize: 456 bytes/workgroup (compile time only)
; SGPRBlocks: 5
; VGPRBlocks: 4
; NumSGPRsForWavesPerEU: 42
; NumVGPRsForWavesPerEU: 34
; AccumOffset: 36
; Occupancy: 8
; WaveLimiterHint : 1
; COMPUTE_PGM_RSRC2:SCRATCH_EN: 0
; COMPUTE_PGM_RSRC2:USER_SGPR: 6
; COMPUTE_PGM_RSRC2:TRAP_HANDLER: 0
; COMPUTE_PGM_RSRC2:TGID_X_EN: 1
; COMPUTE_PGM_RSRC2:TGID_Y_EN: 1
; COMPUTE_PGM_RSRC2:TGID_Z_EN: 0
; COMPUTE_PGM_RSRC2:TIDIG_COMP_CNT: 1
; COMPUTE_PGM_RSRC3_GFX90A:ACCUM_OFFSET: 8
; COMPUTE_PGM_RSRC3_GFX90A:TG_SPLIT: 0
	.section	.text._ZN9rocsparseL29gebsrmm_small_blockdim_kernelILi2ELi4ELi4ELi16E21rocsparse_complex_numIfEEEv20rocsparse_direction_20rocsparse_operation_iiNS_24const_host_device_scalarIT3_EEPKiS9_PKS6_iiSB_lS7_PS6_l21rocsparse_index_base_b,"axG",@progbits,_ZN9rocsparseL29gebsrmm_small_blockdim_kernelILi2ELi4ELi4ELi16E21rocsparse_complex_numIfEEEv20rocsparse_direction_20rocsparse_operation_iiNS_24const_host_device_scalarIT3_EEPKiS9_PKS6_iiSB_lS7_PS6_l21rocsparse_index_base_b,comdat
	.globl	_ZN9rocsparseL29gebsrmm_small_blockdim_kernelILi2ELi4ELi4ELi16E21rocsparse_complex_numIfEEEv20rocsparse_direction_20rocsparse_operation_iiNS_24const_host_device_scalarIT3_EEPKiS9_PKS6_iiSB_lS7_PS6_l21rocsparse_index_base_b ; -- Begin function _ZN9rocsparseL29gebsrmm_small_blockdim_kernelILi2ELi4ELi4ELi16E21rocsparse_complex_numIfEEEv20rocsparse_direction_20rocsparse_operation_iiNS_24const_host_device_scalarIT3_EEPKiS9_PKS6_iiSB_lS7_PS6_l21rocsparse_index_base_b
	.p2align	8
	.type	_ZN9rocsparseL29gebsrmm_small_blockdim_kernelILi2ELi4ELi4ELi16E21rocsparse_complex_numIfEEEv20rocsparse_direction_20rocsparse_operation_iiNS_24const_host_device_scalarIT3_EEPKiS9_PKS6_iiSB_lS7_PS6_l21rocsparse_index_base_b,@function
_ZN9rocsparseL29gebsrmm_small_blockdim_kernelILi2ELi4ELi4ELi16E21rocsparse_complex_numIfEEEv20rocsparse_direction_20rocsparse_operation_iiNS_24const_host_device_scalarIT3_EEPKiS9_PKS6_iiSB_lS7_PS6_l21rocsparse_index_base_b: ; @_ZN9rocsparseL29gebsrmm_small_blockdim_kernelILi2ELi4ELi4ELi16E21rocsparse_complex_numIfEEEv20rocsparse_direction_20rocsparse_operation_iiNS_24const_host_device_scalarIT3_EEPKiS9_PKS6_iiSB_lS7_PS6_l21rocsparse_index_base_b
; %bb.0:
	s_load_dwordx2 s[20:21], s[4:5], 0x60
	s_load_dwordx2 s[2:3], s[4:5], 0x10
	s_waitcnt lgkmcnt(0)
	s_bitcmp1_b32 s21, 0
	s_cselect_b64 s[0:1], -1, 0
	s_xor_b64 s[12:13], s[0:1], -1
	s_and_b64 vcc, exec, s[0:1]
	v_mov_b32_e32 v2, s2
	s_cbranch_vccnz .LBB29_2
; %bb.1:
	v_pk_mov_b32 v[2:3], s[2:3], s[2:3] op_sel:[0,1]
	flat_load_dword v2, v[2:3]
.LBB29_2:
	s_load_dwordx4 s[8:11], s[4:5], 0x40
	v_cndmask_b32_e64 v1, 0, 1, s[12:13]
	v_cmp_ne_u32_e64 s[0:1], 1, v1
	s_andn2_b64 vcc, exec, s[12:13]
	v_mov_b32_e32 v3, s3
	s_cbranch_vccz .LBB29_23
; %bb.3:
	s_and_b64 vcc, exec, s[0:1]
	s_waitcnt lgkmcnt(0)
	v_mov_b32_e32 v4, s10
	s_cbranch_vccz .LBB29_24
.LBB29_4:
	s_and_b64 vcc, exec, s[0:1]
	v_mov_b32_e32 v5, s11
	s_cbranch_vccnz .LBB29_6
.LBB29_5:
	v_pk_mov_b32 v[6:7], s[10:11], s[10:11] op_sel:[0,1]
	flat_load_dword v5, v[6:7] offset:4
.LBB29_6:
	s_waitcnt vmcnt(0)
	v_and_b32_e32 v1, 0x7fffffff, v2
	v_cmp_eq_u32_e32 vcc, 0, v1
	v_cmp_eq_f32_e64 s[0:1], 0, v3
	s_and_b64 s[10:11], vcc, s[0:1]
	s_mov_b64 s[0:1], -1
	s_and_saveexec_b64 s[2:3], s[10:11]
	s_cbranch_execz .LBB29_8
; %bb.7:
	s_waitcnt lgkmcnt(0)
	v_and_b32_e32 v1, 0x7fffffff, v5
	v_cmp_neq_f32_e32 vcc, 1.0, v4
	v_cmp_ne_u32_e64 s[0:1], 0, v1
	s_or_b64 s[0:1], vcc, s[0:1]
	s_orn2_b64 s[0:1], s[0:1], exec
.LBB29_8:
	s_or_b64 exec, exec, s[2:3]
	s_and_saveexec_b64 s[2:3], s[0:1]
	s_cbranch_execz .LBB29_30
; %bb.9:
	s_load_dwordx4 s[16:19], s[4:5], 0x0
	s_mov_b32 s24, 0
	s_mov_b32 s21, 0
	s_waitcnt lgkmcnt(0)
	s_cmp_lt_i32 s6, s18
	s_cselect_b64 s[22:23], -1, 0
	s_cmp_ge_i32 s6, s18
	s_cbranch_scc1 .LBB29_11
; %bb.10:
	s_load_dwordx2 s[2:3], s[4:5], 0x18
	s_mov_b32 s0, s7
	s_ashr_i32 s7, s6, 31
	s_lshl_b64 s[10:11], s[6:7], 2
	s_mov_b32 s7, s0
	s_waitcnt lgkmcnt(0)
	s_add_u32 s0, s2, s10
	s_addc_u32 s1, s3, s11
	s_load_dwordx2 s[0:1], s[0:1], 0x0
	s_waitcnt lgkmcnt(0)
	s_sub_i32 s24, s0, s20
	s_sub_i32 s21, s1, s20
.LBB29_11:
	s_load_dwordx2 s[10:11], s[4:5], 0x50
	v_bfe_u32 v8, v0, 10, 10
	v_and_b32_e32 v12, 0x3ff, v0
	v_lshl_add_u32 v0, s7, 4, v8
	v_mov_b32_e32 v7, 0
	v_ashrrev_i32_e32 v1, 31, v0
	v_cmp_gt_i32_e64 s[0:1], s19, v0
	v_cmp_gt_u32_e64 s[2:3], 2, v12
	s_cmp_ge_i32 s24, s21
	v_mov_b32_e32 v6, v7
	s_cbranch_scc1 .LBB29_25
; %bb.12:
	s_load_dwordx4 s[12:15], s[4:5], 0x20
	s_load_dwordx2 s[30:31], s[4:5], 0x38
	v_cmp_lt_u32_e32 vcc, 3, v12
	s_xor_b64 s[18:19], s[0:1], -1
	s_or_b64 s[18:19], vcc, s[18:19]
	v_cmp_gt_u32_e32 vcc, 4, v8
	v_lshlrev_b64 v[6:7], 3, v[0:1]
	s_and_b64 s[26:27], s[2:3], vcc
	s_waitcnt lgkmcnt(0)
	v_mov_b32_e32 v9, s31
	v_add_co_u32_e32 v13, vcc, s30, v6
	v_addc_co_u32_e32 v14, vcc, v9, v7, vcc
	v_mul_lo_u32 v10, v1, s8
	v_mul_lo_u32 v11, v0, s9
	v_mad_u64_u32 v[6:7], s[28:29], v0, s8, 0
	v_add3_u32 v7, v7, v11, v10
	v_lshlrev_b64 v[6:7], 3, v[6:7]
	v_add_co_u32_e32 v6, vcc, s30, v6
	v_addc_co_u32_e32 v7, vcc, v9, v7, vcc
	v_lshlrev_b32_e32 v9, 3, v12
	s_cmpk_lg_i32 s17, 0x6f
	v_add_co_u32_e32 v16, vcc, v6, v9
	s_cselect_b64 s[28:29], -1, 0
	v_addc_co_u32_e32 v17, vcc, 0, v7, vcc
	s_cmp_eq_u32 s16, 0
	s_cselect_b64 vcc, -1, 0
	s_ashr_i32 s25, s24, 31
	s_lshl_b64 s[16:17], s[24:25], 2
	v_lshlrev_b32_e32 v10, 2, v8
	v_lshlrev_b32_e32 v6, 1, v8
	;; [unrolled: 1-line block ×3, first 2 shown]
	s_add_u32 s12, s12, s16
	v_add_lshl_u32 v15, v10, v12, 3
	v_cndmask_b32_e32 v6, v6, v7, vcc
	v_cndmask_b32_e32 v7, v12, v8, vcc
	s_addc_u32 s13, s13, s17
	s_lshl_b32 s7, s24, 3
	v_mov_b32_e32 v10, 0
	v_add_u32_e32 v18, 0x200, v15
	v_add_u32_e32 v19, 0x200, v9
	v_lshlrev_b32_e32 v20, 5, v8
	v_add3_u32 v8, v7, v6, s7
	v_mov_b32_e32 v6, 0
	v_mov_b32_e32 v7, v10
	s_branch .LBB29_14
.LBB29_13:                              ;   in Loop: Header=BB29_14 Depth=1
	s_or_b64 exec, exec, s[16:17]
	s_waitcnt lgkmcnt(0)
	; wave barrier
	s_waitcnt lgkmcnt(0)
	ds_read2_b64 v[22:25], v19 offset1:4
	ds_read_b128 v[26:29], v20
	ds_read_b128 v[30:33], v20 offset:16
	ds_read2_b64 v[34:37], v19 offset0:8 offset1:12
	s_add_i32 s24, s24, 1
	s_add_u32 s12, s12, 4
	s_waitcnt lgkmcnt(2)
	v_pk_fma_f32 v[6:7], v[22:23], v[26:27], v[6:7] op_sel_hi:[1,0,1]
	v_pk_fma_f32 v[6:7], v[22:23], v[26:27], v[6:7] op_sel:[1,1,0] op_sel_hi:[0,1,1] neg_lo:[1,0,0]
	v_pk_fma_f32 v[6:7], v[24:25], v[28:29], v[6:7] op_sel_hi:[1,0,1]
	v_mov_b32_e32 v22, v29
	v_pk_fma_f32 v[6:7], v[24:25], v[22:23], v[6:7] op_sel:[1,0,0] op_sel_hi:[0,0,1] neg_lo:[1,0,0]
	s_waitcnt lgkmcnt(0)
	v_pk_fma_f32 v[6:7], v[34:35], v[30:31], v[6:7] op_sel_hi:[1,0,1]
	v_pk_fma_f32 v[6:7], v[34:35], v[30:31], v[6:7] op_sel:[1,1,0] op_sel_hi:[0,1,1] neg_lo:[1,0,0]
	v_pk_fma_f32 v[6:7], v[36:37], v[32:33], v[6:7] op_sel_hi:[1,0,1]
	v_mov_b32_e32 v22, v33
	s_addc_u32 s13, s13, 0
	v_pk_fma_f32 v[6:7], v[36:37], v[22:23], v[6:7] op_sel:[1,0,0] op_sel_hi:[0,0,1] neg_lo:[1,0,0]
	s_cmp_ge_i32 s24, s21
	v_add_u32_e32 v8, 8, v8
	s_waitcnt lgkmcnt(0)
	; wave barrier
	s_cbranch_scc1 .LBB29_25
.LBB29_14:                              ; =>This Inner Loop Header: Depth=1
	s_and_saveexec_b64 s[16:17], s[18:19]
	s_xor_b64 s[16:17], exec, s[16:17]
	s_cbranch_execz .LBB29_16
; %bb.15:                               ;   in Loop: Header=BB29_14 Depth=1
	v_mov_b32_e32 v11, v10
	ds_write_b64 v15, v[10:11]
.LBB29_16:                              ;   in Loop: Header=BB29_14 Depth=1
	s_andn2_saveexec_b64 s[16:17], s[16:17]
	s_cbranch_execz .LBB29_21
; %bb.17:                               ;   in Loop: Header=BB29_14 Depth=1
	s_load_dword s7, s[12:13], 0x0
	s_mov_b64 s[34:35], -1
	s_and_b64 vcc, exec, s[28:29]
	s_waitcnt lgkmcnt(0)
	s_sub_i32 s7, s7, s20
	s_lshl_b32 s30, s7, 2
	s_cbranch_vccz .LBB29_19
; %bb.18:                               ;   in Loop: Header=BB29_14 Depth=1
	v_or_b32_e32 v9, s30, v12
	s_ashr_i32 s7, s30, 31
	v_mul_lo_u32 v11, v9, s9
	s_mul_i32 s7, s7, s8
	v_mad_u64_u32 v[22:23], s[34:35], v9, s8, 0
	v_add3_u32 v23, v23, v11, s7
	v_lshlrev_b64 v[22:23], 3, v[22:23]
	v_add_co_u32_e32 v22, vcc, v13, v22
	v_addc_co_u32_e32 v23, vcc, v14, v23, vcc
	global_load_dwordx2 v[22:23], v[22:23], off
	s_mov_b64 s[34:35], 0
	s_waitcnt vmcnt(0)
	ds_write_b64 v15, v[22:23]
.LBB29_19:                              ;   in Loop: Header=BB29_14 Depth=1
	s_andn2_b64 vcc, exec, s[34:35]
	s_cbranch_vccnz .LBB29_21
; %bb.20:                               ;   in Loop: Header=BB29_14 Depth=1
	s_ashr_i32 s31, s30, 31
	s_lshl_b64 s[30:31], s[30:31], 3
	v_mov_b32_e32 v9, s31
	v_add_co_u32_e32 v22, vcc, s30, v16
	v_addc_co_u32_e32 v23, vcc, v17, v9, vcc
	global_load_dwordx2 v[22:23], v[22:23], off
	s_waitcnt vmcnt(0)
	ds_write_b64 v15, v[22:23]
.LBB29_21:                              ;   in Loop: Header=BB29_14 Depth=1
	s_or_b64 exec, exec, s[16:17]
	s_and_saveexec_b64 s[16:17], s[26:27]
	s_cbranch_execz .LBB29_13
; %bb.22:                               ;   in Loop: Header=BB29_14 Depth=1
	v_ashrrev_i32_e32 v9, 31, v8
	v_lshlrev_b64 v[22:23], 3, v[8:9]
	v_mov_b32_e32 v9, s15
	v_add_co_u32_e32 v22, vcc, s14, v22
	v_addc_co_u32_e32 v23, vcc, v9, v23, vcc
	global_load_dwordx2 v[22:23], v[22:23], off
	s_waitcnt vmcnt(0)
	ds_write_b64 v18, v[22:23]
	s_branch .LBB29_13
.LBB29_23:
	v_pk_mov_b32 v[4:5], s[2:3], s[2:3] op_sel:[0,1]
	flat_load_dword v3, v[4:5] offset:4
	s_and_b64 vcc, exec, s[0:1]
	s_waitcnt lgkmcnt(0)
	v_mov_b32_e32 v4, s10
	s_cbranch_vccnz .LBB29_4
.LBB29_24:
	v_pk_mov_b32 v[4:5], s[10:11], s[10:11] op_sel:[0,1]
	flat_load_dword v4, v[4:5]
	s_and_b64 vcc, exec, s[0:1]
	v_mov_b32_e32 v5, s11
	s_cbranch_vccz .LBB29_5
	s_branch .LBB29_6
.LBB29_25:
	s_and_b64 s[0:1], s[2:3], s[0:1]
	s_and_b64 s[0:1], s[22:23], s[0:1]
	s_and_b64 exec, exec, s[0:1]
	s_cbranch_execz .LBB29_30
; %bb.26:
	s_load_dwordx2 s[0:1], s[4:5], 0x58
	v_lshl_add_u32 v8, s6, 1, v12
	s_waitcnt lgkmcnt(0)
	v_mul_lo_u32 v9, v1, s0
	v_mul_lo_u32 v10, v0, s1
	v_mad_u64_u32 v[0:1], s[0:1], v0, s0, 0
	v_add3_u32 v1, v1, v10, v9
	v_and_b32_e32 v9, 0x7fffffff, v4
	v_cmp_ne_u32_e32 vcc, 0, v9
	v_cmp_neq_f32_e64 s[0:1], 0, v5
	s_or_b64 s[0:1], vcc, s[0:1]
	v_ashrrev_i32_e32 v9, 31, v8
	v_lshlrev_b64 v[0:1], 3, v[0:1]
	s_and_saveexec_b64 s[2:3], s[0:1]
	s_xor_b64 s[0:1], exec, s[2:3]
	s_cbranch_execz .LBB29_28
; %bb.27:
	v_mov_b32_e32 v10, s11
	v_add_co_u32_e32 v11, vcc, s10, v0
	v_addc_co_u32_e32 v10, vcc, v10, v1, vcc
	v_lshlrev_b64 v[0:1], 3, v[8:9]
	v_add_co_u32_e32 v0, vcc, v11, v0
	v_addc_co_u32_e32 v1, vcc, v10, v1, vcc
	global_load_dwordx2 v[8:9], v[0:1], off
	v_xor_b32_e32 v10, 0x80000000, v3
	v_mov_b32_e32 v11, v2
	v_pk_mul_f32 v[10:11], v[6:7], v[10:11] op_sel:[1,0]
	v_pk_fma_f32 v[2:3], v[2:3], v[6:7], v[10:11] op_sel_hi:[1,0,1]
	v_xor_b32_e32 v12, 0x80000000, v5
	v_mov_b32_e32 v13, v4
                                        ; implicit-def: $vgpr6_vgpr7
	s_waitcnt vmcnt(0)
	v_pk_fma_f32 v[2:3], v[4:5], v[8:9], v[2:3] op_sel_hi:[1,0,1]
	v_pk_fma_f32 v[2:3], v[12:13], v[8:9], v[2:3] op_sel:[0,1,0]
	global_store_dwordx2 v[0:1], v[2:3], off
                                        ; implicit-def: $vgpr3
                                        ; implicit-def: $vgpr8
                                        ; implicit-def: $vgpr0_vgpr1
.LBB29_28:
	s_andn2_saveexec_b64 s[0:1], s[0:1]
	s_cbranch_execz .LBB29_30
; %bb.29:
	v_mov_b32_e32 v5, s11
	v_add_co_u32_e32 v10, vcc, s10, v0
	v_addc_co_u32_e32 v5, vcc, v5, v1, vcc
	v_lshlrev_b64 v[0:1], 3, v[8:9]
	v_add_co_u32_e32 v0, vcc, v10, v0
	v_xor_b32_e32 v4, 0x80000000, v3
	v_addc_co_u32_e32 v1, vcc, v5, v1, vcc
	v_mov_b32_e32 v5, v2
	v_pk_mul_f32 v[4:5], v[6:7], v[4:5] op_sel:[1,0]
	v_pk_fma_f32 v[2:3], v[2:3], v[6:7], v[4:5] op_sel_hi:[1,0,1]
	global_store_dwordx2 v[0:1], v[2:3], off
.LBB29_30:
	s_endpgm
	.section	.rodata,"a",@progbits
	.p2align	6, 0x0
	.amdhsa_kernel _ZN9rocsparseL29gebsrmm_small_blockdim_kernelILi2ELi4ELi4ELi16E21rocsparse_complex_numIfEEEv20rocsparse_direction_20rocsparse_operation_iiNS_24const_host_device_scalarIT3_EEPKiS9_PKS6_iiSB_lS7_PS6_l21rocsparse_index_base_b
		.amdhsa_group_segment_fixed_size 640
		.amdhsa_private_segment_fixed_size 0
		.amdhsa_kernarg_size 104
		.amdhsa_user_sgpr_count 6
		.amdhsa_user_sgpr_private_segment_buffer 1
		.amdhsa_user_sgpr_dispatch_ptr 0
		.amdhsa_user_sgpr_queue_ptr 0
		.amdhsa_user_sgpr_kernarg_segment_ptr 1
		.amdhsa_user_sgpr_dispatch_id 0
		.amdhsa_user_sgpr_flat_scratch_init 0
		.amdhsa_user_sgpr_kernarg_preload_length 0
		.amdhsa_user_sgpr_kernarg_preload_offset 0
		.amdhsa_user_sgpr_private_segment_size 0
		.amdhsa_uses_dynamic_stack 0
		.amdhsa_system_sgpr_private_segment_wavefront_offset 0
		.amdhsa_system_sgpr_workgroup_id_x 1
		.amdhsa_system_sgpr_workgroup_id_y 1
		.amdhsa_system_sgpr_workgroup_id_z 0
		.amdhsa_system_sgpr_workgroup_info 0
		.amdhsa_system_vgpr_workitem_id 1
		.amdhsa_next_free_vgpr 38
		.amdhsa_next_free_sgpr 36
		.amdhsa_accum_offset 40
		.amdhsa_reserve_vcc 1
		.amdhsa_reserve_flat_scratch 0
		.amdhsa_float_round_mode_32 0
		.amdhsa_float_round_mode_16_64 0
		.amdhsa_float_denorm_mode_32 3
		.amdhsa_float_denorm_mode_16_64 3
		.amdhsa_dx10_clamp 1
		.amdhsa_ieee_mode 1
		.amdhsa_fp16_overflow 0
		.amdhsa_tg_split 0
		.amdhsa_exception_fp_ieee_invalid_op 0
		.amdhsa_exception_fp_denorm_src 0
		.amdhsa_exception_fp_ieee_div_zero 0
		.amdhsa_exception_fp_ieee_overflow 0
		.amdhsa_exception_fp_ieee_underflow 0
		.amdhsa_exception_fp_ieee_inexact 0
		.amdhsa_exception_int_div_zero 0
	.end_amdhsa_kernel
	.section	.text._ZN9rocsparseL29gebsrmm_small_blockdim_kernelILi2ELi4ELi4ELi16E21rocsparse_complex_numIfEEEv20rocsparse_direction_20rocsparse_operation_iiNS_24const_host_device_scalarIT3_EEPKiS9_PKS6_iiSB_lS7_PS6_l21rocsparse_index_base_b,"axG",@progbits,_ZN9rocsparseL29gebsrmm_small_blockdim_kernelILi2ELi4ELi4ELi16E21rocsparse_complex_numIfEEEv20rocsparse_direction_20rocsparse_operation_iiNS_24const_host_device_scalarIT3_EEPKiS9_PKS6_iiSB_lS7_PS6_l21rocsparse_index_base_b,comdat
.Lfunc_end29:
	.size	_ZN9rocsparseL29gebsrmm_small_blockdim_kernelILi2ELi4ELi4ELi16E21rocsparse_complex_numIfEEEv20rocsparse_direction_20rocsparse_operation_iiNS_24const_host_device_scalarIT3_EEPKiS9_PKS6_iiSB_lS7_PS6_l21rocsparse_index_base_b, .Lfunc_end29-_ZN9rocsparseL29gebsrmm_small_blockdim_kernelILi2ELi4ELi4ELi16E21rocsparse_complex_numIfEEEv20rocsparse_direction_20rocsparse_operation_iiNS_24const_host_device_scalarIT3_EEPKiS9_PKS6_iiSB_lS7_PS6_l21rocsparse_index_base_b
                                        ; -- End function
	.section	.AMDGPU.csdata,"",@progbits
; Kernel info:
; codeLenInByte = 1372
; NumSgprs: 40
; NumVgprs: 38
; NumAgprs: 0
; TotalNumVgprs: 38
; ScratchSize: 0
; MemoryBound: 0
; FloatMode: 240
; IeeeMode: 1
; LDSByteSize: 640 bytes/workgroup (compile time only)
; SGPRBlocks: 4
; VGPRBlocks: 4
; NumSGPRsForWavesPerEU: 40
; NumVGPRsForWavesPerEU: 38
; AccumOffset: 40
; Occupancy: 8
; WaveLimiterHint : 1
; COMPUTE_PGM_RSRC2:SCRATCH_EN: 0
; COMPUTE_PGM_RSRC2:USER_SGPR: 6
; COMPUTE_PGM_RSRC2:TRAP_HANDLER: 0
; COMPUTE_PGM_RSRC2:TGID_X_EN: 1
; COMPUTE_PGM_RSRC2:TGID_Y_EN: 1
; COMPUTE_PGM_RSRC2:TGID_Z_EN: 0
; COMPUTE_PGM_RSRC2:TIDIG_COMP_CNT: 1
; COMPUTE_PGM_RSRC3_GFX90A:ACCUM_OFFSET: 9
; COMPUTE_PGM_RSRC3_GFX90A:TG_SPLIT: 0
	.section	.text._ZN9rocsparseL29gebsrmm_small_blockdim_kernelILi3ELi1ELi3ELi16E21rocsparse_complex_numIfEEEv20rocsparse_direction_20rocsparse_operation_iiNS_24const_host_device_scalarIT3_EEPKiS9_PKS6_iiSB_lS7_PS6_l21rocsparse_index_base_b,"axG",@progbits,_ZN9rocsparseL29gebsrmm_small_blockdim_kernelILi3ELi1ELi3ELi16E21rocsparse_complex_numIfEEEv20rocsparse_direction_20rocsparse_operation_iiNS_24const_host_device_scalarIT3_EEPKiS9_PKS6_iiSB_lS7_PS6_l21rocsparse_index_base_b,comdat
	.globl	_ZN9rocsparseL29gebsrmm_small_blockdim_kernelILi3ELi1ELi3ELi16E21rocsparse_complex_numIfEEEv20rocsparse_direction_20rocsparse_operation_iiNS_24const_host_device_scalarIT3_EEPKiS9_PKS6_iiSB_lS7_PS6_l21rocsparse_index_base_b ; -- Begin function _ZN9rocsparseL29gebsrmm_small_blockdim_kernelILi3ELi1ELi3ELi16E21rocsparse_complex_numIfEEEv20rocsparse_direction_20rocsparse_operation_iiNS_24const_host_device_scalarIT3_EEPKiS9_PKS6_iiSB_lS7_PS6_l21rocsparse_index_base_b
	.p2align	8
	.type	_ZN9rocsparseL29gebsrmm_small_blockdim_kernelILi3ELi1ELi3ELi16E21rocsparse_complex_numIfEEEv20rocsparse_direction_20rocsparse_operation_iiNS_24const_host_device_scalarIT3_EEPKiS9_PKS6_iiSB_lS7_PS6_l21rocsparse_index_base_b,@function
_ZN9rocsparseL29gebsrmm_small_blockdim_kernelILi3ELi1ELi3ELi16E21rocsparse_complex_numIfEEEv20rocsparse_direction_20rocsparse_operation_iiNS_24const_host_device_scalarIT3_EEPKiS9_PKS6_iiSB_lS7_PS6_l21rocsparse_index_base_b: ; @_ZN9rocsparseL29gebsrmm_small_blockdim_kernelILi3ELi1ELi3ELi16E21rocsparse_complex_numIfEEEv20rocsparse_direction_20rocsparse_operation_iiNS_24const_host_device_scalarIT3_EEPKiS9_PKS6_iiSB_lS7_PS6_l21rocsparse_index_base_b
; %bb.0:
	s_load_dwordx2 s[20:21], s[4:5], 0x60
	s_load_dwordx2 s[2:3], s[4:5], 0x10
	s_waitcnt lgkmcnt(0)
	s_bitcmp1_b32 s21, 0
	s_cselect_b64 s[0:1], -1, 0
	s_xor_b64 s[12:13], s[0:1], -1
	s_and_b64 vcc, exec, s[0:1]
	v_mov_b32_e32 v2, s2
	s_cbranch_vccnz .LBB30_2
; %bb.1:
	v_pk_mov_b32 v[2:3], s[2:3], s[2:3] op_sel:[0,1]
	flat_load_dword v2, v[2:3]
.LBB30_2:
	s_load_dwordx4 s[8:11], s[4:5], 0x40
	v_cndmask_b32_e64 v1, 0, 1, s[12:13]
	v_cmp_ne_u32_e64 s[0:1], 1, v1
	s_andn2_b64 vcc, exec, s[12:13]
	v_mov_b32_e32 v3, s3
	s_cbranch_vccz .LBB30_23
; %bb.3:
	s_and_b64 vcc, exec, s[0:1]
	s_waitcnt lgkmcnt(0)
	v_mov_b32_e32 v4, s10
	s_cbranch_vccz .LBB30_24
.LBB30_4:
	s_and_b64 vcc, exec, s[0:1]
	v_mov_b32_e32 v5, s11
	s_cbranch_vccnz .LBB30_6
.LBB30_5:
	v_pk_mov_b32 v[6:7], s[10:11], s[10:11] op_sel:[0,1]
	flat_load_dword v5, v[6:7] offset:4
.LBB30_6:
	s_waitcnt vmcnt(0)
	v_and_b32_e32 v1, 0x7fffffff, v2
	v_cmp_eq_u32_e32 vcc, 0, v1
	v_cmp_eq_f32_e64 s[0:1], 0, v3
	s_and_b64 s[10:11], vcc, s[0:1]
	s_mov_b64 s[0:1], -1
	s_and_saveexec_b64 s[2:3], s[10:11]
	s_cbranch_execz .LBB30_8
; %bb.7:
	s_waitcnt lgkmcnt(0)
	v_and_b32_e32 v1, 0x7fffffff, v5
	v_cmp_neq_f32_e32 vcc, 1.0, v4
	v_cmp_ne_u32_e64 s[0:1], 0, v1
	s_or_b64 s[0:1], vcc, s[0:1]
	s_orn2_b64 s[0:1], s[0:1], exec
.LBB30_8:
	s_or_b64 exec, exec, s[2:3]
	s_and_saveexec_b64 s[2:3], s[0:1]
	s_cbranch_execz .LBB30_30
; %bb.9:
	s_load_dwordx4 s[16:19], s[4:5], 0x4
	s_mov_b32 s24, 0
	s_mov_b32 s21, 0
	s_waitcnt lgkmcnt(0)
	s_cmp_lt_i32 s6, s17
	s_cselect_b64 s[22:23], -1, 0
	s_cmp_ge_i32 s6, s17
	s_cbranch_scc1 .LBB30_11
; %bb.10:
	s_load_dwordx2 s[2:3], s[4:5], 0x18
	s_mov_b32 s0, s7
	s_ashr_i32 s7, s6, 31
	s_lshl_b64 s[10:11], s[6:7], 2
	s_mov_b32 s7, s0
	s_waitcnt lgkmcnt(0)
	s_add_u32 s0, s2, s10
	s_addc_u32 s1, s3, s11
	s_load_dwordx2 s[0:1], s[0:1], 0x0
	s_waitcnt lgkmcnt(0)
	s_sub_i32 s24, s0, s20
	s_sub_i32 s21, s1, s20
.LBB30_11:
	s_load_dwordx2 s[10:11], s[4:5], 0x50
	v_bfe_u32 v10, v0, 10, 10
	v_and_b32_e32 v8, 0x3ff, v0
	v_lshl_add_u32 v6, s7, 4, v10
	v_mov_b32_e32 v1, 0
	v_ashrrev_i32_e32 v7, 31, v6
	v_cmp_gt_i32_e64 s[0:1], s18, v6
	v_cmp_gt_u32_e64 s[2:3], 3, v8
	s_cmp_ge_i32 s24, s21
	v_mov_b32_e32 v0, v1
	s_cbranch_scc1 .LBB30_25
; %bb.12:
	s_load_dwordx4 s[12:15], s[4:5], 0x20
	s_load_dwordx2 s[28:29], s[4:5], 0x38
	v_cmp_ne_u32_e32 vcc, 0, v8
	s_xor_b64 s[18:19], s[0:1], -1
	s_or_b64 s[18:19], vcc, s[18:19]
	v_cmp_eq_u32_e32 vcc, 0, v10
	v_lshlrev_b64 v[0:1], 3, v[6:7]
	s_and_b64 s[26:27], s[2:3], vcc
	s_waitcnt lgkmcnt(0)
	v_mov_b32_e32 v11, s29
	v_add_co_u32_e32 v9, vcc, s28, v0
	v_addc_co_u32_e32 v14, vcc, v11, v1, vcc
	v_mul_lo_u32 v12, v7, s8
	v_mul_lo_u32 v13, v6, s9
	v_mad_u64_u32 v[0:1], s[30:31], v6, s8, 0
	v_add3_u32 v1, v1, v13, v12
	s_cmpk_lg_i32 s16, 0x6f
	s_cselect_b64 s[16:17], -1, 0
	v_lshlrev_b64 v[0:1], 3, v[0:1]
	s_ashr_i32 s25, s24, 31
	v_mul_u32_u24_e32 v10, 3, v10
	v_add_co_u32_e32 v16, vcc, s28, v0
	s_lshl_b64 s[28:29], s[24:25], 2
	v_add_lshl_u32 v15, v10, v8, 3
	v_mov_b32_e32 v0, 0x180
	s_add_u32 s12, s12, s28
	v_mov_b32_e32 v12, 0
	v_addc_co_u32_e32 v17, vcc, v11, v1, vcc
	v_add_u32_e32 v18, 0x180, v15
	v_lshl_add_u32 v19, v8, 3, v0
	v_lshlrev_b32_e32 v20, 3, v10
	s_addc_u32 s13, s13, s29
	v_mad_u64_u32 v[10:11], s[28:29], s24, 3, v[8:9]
	v_mov_b32_e32 v0, 0
	v_mov_b32_e32 v1, v12
	s_branch .LBB30_14
.LBB30_13:                              ;   in Loop: Header=BB30_14 Depth=1
	s_or_b64 exec, exec, s[28:29]
	s_waitcnt lgkmcnt(0)
	; wave barrier
	s_waitcnt lgkmcnt(0)
	ds_read_b64 v[22:23], v20
	ds_read_b64 v[24:25], v19
	s_add_i32 s24, s24, 1
	s_add_u32 s12, s12, 4
	s_addc_u32 s13, s13, 0
	s_cmp_ge_i32 s24, s21
	s_waitcnt lgkmcnt(0)
	v_pk_fma_f32 v[0:1], v[24:25], v[22:23], v[0:1] op_sel_hi:[1,0,1]
	v_pk_fma_f32 v[0:1], v[24:25], v[22:23], v[0:1] op_sel:[1,1,0] op_sel_hi:[0,1,1] neg_lo:[1,0,0]
	v_add_u32_e32 v10, 3, v10
	s_waitcnt lgkmcnt(0)
	; wave barrier
	s_cbranch_scc1 .LBB30_25
.LBB30_14:                              ; =>This Inner Loop Header: Depth=1
	s_and_saveexec_b64 s[28:29], s[18:19]
	s_xor_b64 s[28:29], exec, s[28:29]
	s_cbranch_execz .LBB30_16
; %bb.15:                               ;   in Loop: Header=BB30_14 Depth=1
	v_mov_b32_e32 v13, v12
	ds_write_b64 v15, v[12:13]
.LBB30_16:                              ;   in Loop: Header=BB30_14 Depth=1
	s_andn2_saveexec_b64 s[28:29], s[28:29]
	s_cbranch_execz .LBB30_21
; %bb.17:                               ;   in Loop: Header=BB30_14 Depth=1
	s_load_dword s7, s[12:13], 0x0
	s_mov_b64 s[34:35], -1
	s_and_b64 vcc, exec, s[16:17]
	s_waitcnt lgkmcnt(0)
	s_sub_i32 s30, s7, s20
	s_ashr_i32 s31, s30, 31
	s_cbranch_vccz .LBB30_19
; %bb.18:                               ;   in Loop: Header=BB30_14 Depth=1
	s_mul_i32 s7, s30, s9
	s_mul_hi_u32 s25, s30, s8
	s_add_i32 s7, s25, s7
	s_mul_i32 s25, s31, s8
	s_add_i32 s35, s7, s25
	s_mul_i32 s34, s30, s8
	s_lshl_b64 s[34:35], s[34:35], 3
	v_mov_b32_e32 v11, s35
	v_add_co_u32_e32 v22, vcc, s34, v9
	v_addc_co_u32_e32 v23, vcc, v14, v11, vcc
	global_load_dwordx2 v[22:23], v[22:23], off
	s_mov_b64 s[34:35], 0
	s_waitcnt vmcnt(0)
	ds_write_b64 v15, v[22:23]
.LBB30_19:                              ;   in Loop: Header=BB30_14 Depth=1
	s_andn2_b64 vcc, exec, s[34:35]
	s_cbranch_vccnz .LBB30_21
; %bb.20:                               ;   in Loop: Header=BB30_14 Depth=1
	s_lshl_b64 s[30:31], s[30:31], 3
	v_mov_b32_e32 v11, s31
	v_add_co_u32_e32 v22, vcc, s30, v16
	v_addc_co_u32_e32 v23, vcc, v17, v11, vcc
	global_load_dwordx2 v[22:23], v[22:23], off
	s_waitcnt vmcnt(0)
	ds_write_b64 v15, v[22:23]
.LBB30_21:                              ;   in Loop: Header=BB30_14 Depth=1
	s_or_b64 exec, exec, s[28:29]
	s_and_saveexec_b64 s[28:29], s[26:27]
	s_cbranch_execz .LBB30_13
; %bb.22:                               ;   in Loop: Header=BB30_14 Depth=1
	v_ashrrev_i32_e32 v11, 31, v10
	v_lshlrev_b64 v[22:23], 3, v[10:11]
	v_mov_b32_e32 v11, s15
	v_add_co_u32_e32 v22, vcc, s14, v22
	v_addc_co_u32_e32 v23, vcc, v11, v23, vcc
	global_load_dwordx2 v[22:23], v[22:23], off
	s_waitcnt vmcnt(0)
	ds_write_b64 v18, v[22:23]
	s_branch .LBB30_13
.LBB30_23:
	v_pk_mov_b32 v[4:5], s[2:3], s[2:3] op_sel:[0,1]
	flat_load_dword v3, v[4:5] offset:4
	s_and_b64 vcc, exec, s[0:1]
	s_waitcnt lgkmcnt(0)
	v_mov_b32_e32 v4, s10
	s_cbranch_vccnz .LBB30_4
.LBB30_24:
	v_pk_mov_b32 v[4:5], s[10:11], s[10:11] op_sel:[0,1]
	flat_load_dword v4, v[4:5]
	s_and_b64 vcc, exec, s[0:1]
	v_mov_b32_e32 v5, s11
	s_cbranch_vccz .LBB30_5
	s_branch .LBB30_6
.LBB30_25:
	s_and_b64 s[0:1], s[2:3], s[0:1]
	s_and_b64 s[0:1], s[22:23], s[0:1]
	s_and_b64 exec, exec, s[0:1]
	s_cbranch_execz .LBB30_30
; %bb.26:
	s_load_dwordx2 s[0:1], s[4:5], 0x58
	v_mad_u64_u32 v[8:9], s[2:3], s6, 3, v[8:9]
	s_waitcnt lgkmcnt(0)
	v_mul_lo_u32 v9, v7, s0
	v_mul_lo_u32 v10, v6, s1
	v_mad_u64_u32 v[6:7], s[0:1], v6, s0, 0
	v_add3_u32 v7, v7, v10, v9
	v_and_b32_e32 v9, 0x7fffffff, v4
	v_cmp_ne_u32_e32 vcc, 0, v9
	v_cmp_neq_f32_e64 s[0:1], 0, v5
	s_or_b64 s[0:1], vcc, s[0:1]
	v_ashrrev_i32_e32 v9, 31, v8
	v_lshlrev_b64 v[6:7], 3, v[6:7]
	s_and_saveexec_b64 s[2:3], s[0:1]
	s_xor_b64 s[0:1], exec, s[2:3]
	s_cbranch_execz .LBB30_28
; %bb.27:
	v_mov_b32_e32 v10, s11
	v_add_co_u32_e32 v11, vcc, s10, v6
	v_addc_co_u32_e32 v10, vcc, v10, v7, vcc
	v_lshlrev_b64 v[6:7], 3, v[8:9]
	v_add_co_u32_e32 v6, vcc, v11, v6
	v_addc_co_u32_e32 v7, vcc, v10, v7, vcc
	global_load_dwordx2 v[8:9], v[6:7], off
	v_xor_b32_e32 v10, 0x80000000, v3
	v_mov_b32_e32 v11, v2
	v_pk_mul_f32 v[10:11], v[0:1], v[10:11] op_sel:[1,0]
	v_pk_fma_f32 v[0:1], v[2:3], v[0:1], v[10:11] op_sel_hi:[1,0,1]
	v_xor_b32_e32 v12, 0x80000000, v5
	v_mov_b32_e32 v13, v4
                                        ; implicit-def: $vgpr3
	s_waitcnt vmcnt(0)
	v_pk_fma_f32 v[0:1], v[4:5], v[8:9], v[0:1] op_sel_hi:[1,0,1]
	v_pk_fma_f32 v[0:1], v[12:13], v[8:9], v[0:1] op_sel:[0,1,0]
	global_store_dwordx2 v[6:7], v[0:1], off
                                        ; implicit-def: $vgpr8_vgpr9
                                        ; implicit-def: $vgpr6_vgpr7
                                        ; implicit-def: $vgpr0_vgpr1
.LBB30_28:
	s_andn2_saveexec_b64 s[0:1], s[0:1]
	s_cbranch_execz .LBB30_30
; %bb.29:
	v_mov_b32_e32 v5, s11
	v_add_co_u32_e32 v10, vcc, s10, v6
	v_addc_co_u32_e32 v5, vcc, v5, v7, vcc
	v_lshlrev_b64 v[6:7], 3, v[8:9]
	v_add_co_u32_e32 v6, vcc, v10, v6
	v_xor_b32_e32 v4, 0x80000000, v3
	v_addc_co_u32_e32 v7, vcc, v5, v7, vcc
	v_mov_b32_e32 v5, v2
	v_pk_mul_f32 v[4:5], v[0:1], v[4:5] op_sel:[1,0]
	v_pk_fma_f32 v[0:1], v[2:3], v[0:1], v[4:5] op_sel_hi:[1,0,1]
	global_store_dwordx2 v[6:7], v[0:1], off
.LBB30_30:
	s_endpgm
	.section	.rodata,"a",@progbits
	.p2align	6, 0x0
	.amdhsa_kernel _ZN9rocsparseL29gebsrmm_small_blockdim_kernelILi3ELi1ELi3ELi16E21rocsparse_complex_numIfEEEv20rocsparse_direction_20rocsparse_operation_iiNS_24const_host_device_scalarIT3_EEPKiS9_PKS6_iiSB_lS7_PS6_l21rocsparse_index_base_b
		.amdhsa_group_segment_fixed_size 456
		.amdhsa_private_segment_fixed_size 0
		.amdhsa_kernarg_size 104
		.amdhsa_user_sgpr_count 6
		.amdhsa_user_sgpr_private_segment_buffer 1
		.amdhsa_user_sgpr_dispatch_ptr 0
		.amdhsa_user_sgpr_queue_ptr 0
		.amdhsa_user_sgpr_kernarg_segment_ptr 1
		.amdhsa_user_sgpr_dispatch_id 0
		.amdhsa_user_sgpr_flat_scratch_init 0
		.amdhsa_user_sgpr_kernarg_preload_length 0
		.amdhsa_user_sgpr_kernarg_preload_offset 0
		.amdhsa_user_sgpr_private_segment_size 0
		.amdhsa_uses_dynamic_stack 0
		.amdhsa_system_sgpr_private_segment_wavefront_offset 0
		.amdhsa_system_sgpr_workgroup_id_x 1
		.amdhsa_system_sgpr_workgroup_id_y 1
		.amdhsa_system_sgpr_workgroup_id_z 0
		.amdhsa_system_sgpr_workgroup_info 0
		.amdhsa_system_vgpr_workitem_id 1
		.amdhsa_next_free_vgpr 26
		.amdhsa_next_free_sgpr 36
		.amdhsa_accum_offset 28
		.amdhsa_reserve_vcc 1
		.amdhsa_reserve_flat_scratch 0
		.amdhsa_float_round_mode_32 0
		.amdhsa_float_round_mode_16_64 0
		.amdhsa_float_denorm_mode_32 3
		.amdhsa_float_denorm_mode_16_64 3
		.amdhsa_dx10_clamp 1
		.amdhsa_ieee_mode 1
		.amdhsa_fp16_overflow 0
		.amdhsa_tg_split 0
		.amdhsa_exception_fp_ieee_invalid_op 0
		.amdhsa_exception_fp_denorm_src 0
		.amdhsa_exception_fp_ieee_div_zero 0
		.amdhsa_exception_fp_ieee_overflow 0
		.amdhsa_exception_fp_ieee_underflow 0
		.amdhsa_exception_fp_ieee_inexact 0
		.amdhsa_exception_int_div_zero 0
	.end_amdhsa_kernel
	.section	.text._ZN9rocsparseL29gebsrmm_small_blockdim_kernelILi3ELi1ELi3ELi16E21rocsparse_complex_numIfEEEv20rocsparse_direction_20rocsparse_operation_iiNS_24const_host_device_scalarIT3_EEPKiS9_PKS6_iiSB_lS7_PS6_l21rocsparse_index_base_b,"axG",@progbits,_ZN9rocsparseL29gebsrmm_small_blockdim_kernelILi3ELi1ELi3ELi16E21rocsparse_complex_numIfEEEv20rocsparse_direction_20rocsparse_operation_iiNS_24const_host_device_scalarIT3_EEPKiS9_PKS6_iiSB_lS7_PS6_l21rocsparse_index_base_b,comdat
.Lfunc_end30:
	.size	_ZN9rocsparseL29gebsrmm_small_blockdim_kernelILi3ELi1ELi3ELi16E21rocsparse_complex_numIfEEEv20rocsparse_direction_20rocsparse_operation_iiNS_24const_host_device_scalarIT3_EEPKiS9_PKS6_iiSB_lS7_PS6_l21rocsparse_index_base_b, .Lfunc_end30-_ZN9rocsparseL29gebsrmm_small_blockdim_kernelILi3ELi1ELi3ELi16E21rocsparse_complex_numIfEEEv20rocsparse_direction_20rocsparse_operation_iiNS_24const_host_device_scalarIT3_EEPKiS9_PKS6_iiSB_lS7_PS6_l21rocsparse_index_base_b
                                        ; -- End function
	.section	.AMDGPU.csdata,"",@progbits
; Kernel info:
; codeLenInByte = 1248
; NumSgprs: 40
; NumVgprs: 26
; NumAgprs: 0
; TotalNumVgprs: 26
; ScratchSize: 0
; MemoryBound: 0
; FloatMode: 240
; IeeeMode: 1
; LDSByteSize: 456 bytes/workgroup (compile time only)
; SGPRBlocks: 4
; VGPRBlocks: 3
; NumSGPRsForWavesPerEU: 40
; NumVGPRsForWavesPerEU: 26
; AccumOffset: 28
; Occupancy: 8
; WaveLimiterHint : 1
; COMPUTE_PGM_RSRC2:SCRATCH_EN: 0
; COMPUTE_PGM_RSRC2:USER_SGPR: 6
; COMPUTE_PGM_RSRC2:TRAP_HANDLER: 0
; COMPUTE_PGM_RSRC2:TGID_X_EN: 1
; COMPUTE_PGM_RSRC2:TGID_Y_EN: 1
; COMPUTE_PGM_RSRC2:TGID_Z_EN: 0
; COMPUTE_PGM_RSRC2:TIDIG_COMP_CNT: 1
; COMPUTE_PGM_RSRC3_GFX90A:ACCUM_OFFSET: 6
; COMPUTE_PGM_RSRC3_GFX90A:TG_SPLIT: 0
	.section	.text._ZN9rocsparseL29gebsrmm_small_blockdim_kernelILi3ELi2ELi3ELi16E21rocsparse_complex_numIfEEEv20rocsparse_direction_20rocsparse_operation_iiNS_24const_host_device_scalarIT3_EEPKiS9_PKS6_iiSB_lS7_PS6_l21rocsparse_index_base_b,"axG",@progbits,_ZN9rocsparseL29gebsrmm_small_blockdim_kernelILi3ELi2ELi3ELi16E21rocsparse_complex_numIfEEEv20rocsparse_direction_20rocsparse_operation_iiNS_24const_host_device_scalarIT3_EEPKiS9_PKS6_iiSB_lS7_PS6_l21rocsparse_index_base_b,comdat
	.globl	_ZN9rocsparseL29gebsrmm_small_blockdim_kernelILi3ELi2ELi3ELi16E21rocsparse_complex_numIfEEEv20rocsparse_direction_20rocsparse_operation_iiNS_24const_host_device_scalarIT3_EEPKiS9_PKS6_iiSB_lS7_PS6_l21rocsparse_index_base_b ; -- Begin function _ZN9rocsparseL29gebsrmm_small_blockdim_kernelILi3ELi2ELi3ELi16E21rocsparse_complex_numIfEEEv20rocsparse_direction_20rocsparse_operation_iiNS_24const_host_device_scalarIT3_EEPKiS9_PKS6_iiSB_lS7_PS6_l21rocsparse_index_base_b
	.p2align	8
	.type	_ZN9rocsparseL29gebsrmm_small_blockdim_kernelILi3ELi2ELi3ELi16E21rocsparse_complex_numIfEEEv20rocsparse_direction_20rocsparse_operation_iiNS_24const_host_device_scalarIT3_EEPKiS9_PKS6_iiSB_lS7_PS6_l21rocsparse_index_base_b,@function
_ZN9rocsparseL29gebsrmm_small_blockdim_kernelILi3ELi2ELi3ELi16E21rocsparse_complex_numIfEEEv20rocsparse_direction_20rocsparse_operation_iiNS_24const_host_device_scalarIT3_EEPKiS9_PKS6_iiSB_lS7_PS6_l21rocsparse_index_base_b: ; @_ZN9rocsparseL29gebsrmm_small_blockdim_kernelILi3ELi2ELi3ELi16E21rocsparse_complex_numIfEEEv20rocsparse_direction_20rocsparse_operation_iiNS_24const_host_device_scalarIT3_EEPKiS9_PKS6_iiSB_lS7_PS6_l21rocsparse_index_base_b
; %bb.0:
	s_load_dwordx2 s[20:21], s[4:5], 0x60
	s_load_dwordx2 s[2:3], s[4:5], 0x10
	s_waitcnt lgkmcnt(0)
	s_bitcmp1_b32 s21, 0
	s_cselect_b64 s[0:1], -1, 0
	s_xor_b64 s[8:9], s[0:1], -1
	s_and_b64 vcc, exec, s[0:1]
	v_mov_b32_e32 v2, s2
	s_cbranch_vccnz .LBB31_2
; %bb.1:
	v_pk_mov_b32 v[2:3], s[2:3], s[2:3] op_sel:[0,1]
	flat_load_dword v2, v[2:3]
.LBB31_2:
	s_load_dwordx4 s[12:15], s[4:5], 0x40
	v_cndmask_b32_e64 v1, 0, 1, s[8:9]
	v_cmp_ne_u32_e64 s[0:1], 1, v1
	s_andn2_b64 vcc, exec, s[8:9]
	v_mov_b32_e32 v3, s3
	s_cbranch_vccz .LBB31_23
; %bb.3:
	s_and_b64 vcc, exec, s[0:1]
	s_waitcnt lgkmcnt(0)
	v_mov_b32_e32 v4, s14
	s_cbranch_vccz .LBB31_24
.LBB31_4:
	s_and_b64 vcc, exec, s[0:1]
	v_mov_b32_e32 v5, s15
	s_cbranch_vccnz .LBB31_6
.LBB31_5:
	v_pk_mov_b32 v[6:7], s[14:15], s[14:15] op_sel:[0,1]
	flat_load_dword v5, v[6:7] offset:4
.LBB31_6:
	s_waitcnt vmcnt(0)
	v_and_b32_e32 v1, 0x7fffffff, v2
	v_cmp_eq_u32_e32 vcc, 0, v1
	v_cmp_eq_f32_e64 s[0:1], 0, v3
	s_and_b64 s[8:9], vcc, s[0:1]
	s_mov_b64 s[0:1], -1
	s_and_saveexec_b64 s[2:3], s[8:9]
	s_cbranch_execz .LBB31_8
; %bb.7:
	s_waitcnt lgkmcnt(0)
	v_and_b32_e32 v1, 0x7fffffff, v5
	v_cmp_neq_f32_e32 vcc, 1.0, v4
	v_cmp_ne_u32_e64 s[0:1], 0, v1
	s_or_b64 s[0:1], vcc, s[0:1]
	s_orn2_b64 s[0:1], s[0:1], exec
.LBB31_8:
	s_or_b64 exec, exec, s[2:3]
	s_and_saveexec_b64 s[2:3], s[0:1]
	s_cbranch_execz .LBB31_30
; %bb.9:
	s_load_dwordx4 s[8:11], s[4:5], 0x0
	s_mov_b32 s24, 0
	s_mov_b32 s21, 0
	s_waitcnt lgkmcnt(0)
	s_cmp_lt_i32 s6, s10
	s_cselect_b64 s[22:23], -1, 0
	s_cmp_ge_i32 s6, s10
	s_cbranch_scc1 .LBB31_11
; %bb.10:
	s_load_dwordx2 s[2:3], s[4:5], 0x18
	s_mov_b32 s0, s7
	s_ashr_i32 s7, s6, 31
	s_lshl_b64 s[14:15], s[6:7], 2
	s_mov_b32 s7, s0
	s_waitcnt lgkmcnt(0)
	s_add_u32 s0, s2, s14
	s_addc_u32 s1, s3, s15
	s_load_dwordx2 s[0:1], s[0:1], 0x0
	s_waitcnt lgkmcnt(0)
	s_sub_i32 s24, s0, s20
	s_sub_i32 s21, s1, s20
.LBB31_11:
	s_load_dwordx2 s[14:15], s[4:5], 0x50
	v_bfe_u32 v10, v0, 10, 10
	v_and_b32_e32 v6, 0x3ff, v0
	v_lshl_add_u32 v0, s7, 4, v10
	v_mov_b32_e32 v9, 0
	v_ashrrev_i32_e32 v1, 31, v0
	v_cmp_gt_i32_e64 s[0:1], s11, v0
	v_cmp_gt_u32_e64 s[2:3], 3, v6
	s_cmp_ge_i32 s24, s21
	v_mov_b32_e32 v8, v9
	s_cbranch_scc1 .LBB31_25
; %bb.12:
	s_load_dwordx4 s[16:19], s[4:5], 0x20
	s_load_dwordx2 s[30:31], s[4:5], 0x38
	v_cmp_lt_u32_e32 vcc, 1, v6
	s_xor_b64 s[10:11], s[0:1], -1
	s_or_b64 s[10:11], vcc, s[10:11]
	v_cmp_gt_u32_e32 vcc, 2, v10
	v_lshlrev_b64 v[8:9], 3, v[0:1]
	s_and_b64 s[26:27], s[2:3], vcc
	s_waitcnt lgkmcnt(0)
	v_mov_b32_e32 v11, s31
	v_add_co_u32_e32 v7, vcc, s30, v8
	v_addc_co_u32_e32 v12, vcc, v11, v9, vcc
	v_mul_lo_u32 v13, v1, s12
	v_mul_lo_u32 v14, v0, s13
	v_mad_u64_u32 v[8:9], s[28:29], v0, s12, 0
	v_add3_u32 v9, v9, v14, v13
	s_cmpk_lg_i32 s9, 0x6f
	v_lshlrev_b64 v[8:9], 3, v[8:9]
	s_cselect_b64 s[28:29], -1, 0
	v_add_co_u32_e32 v8, vcc, s30, v8
	s_cmp_eq_u32 s8, 0
	v_addc_co_u32_e32 v9, vcc, v11, v9, vcc
	v_lshlrev_b32_e32 v11, 3, v6
	s_cselect_b64 s[8:9], -1, 0
	s_ashr_i32 s25, s24, 31
	v_mad_u32_u24 v19, v10, 3, v6
	v_add_co_u32_e32 v14, vcc, v8, v11
	v_lshlrev_b32_e32 v8, 1, v6
	s_lshl_b64 s[30:31], s[24:25], 2
	s_mul_i32 s7, s24, 6
	v_mul_u32_u24_e32 v18, 3, v10
	v_lshlrev_b32_e32 v13, 3, v19
	s_add_u32 s16, s16, s30
	v_add3_u32 v20, v10, s7, v8
	v_mov_b32_e32 v10, 0
	v_addc_co_u32_e32 v15, vcc, 0, v9, vcc
	v_add_u32_e32 v16, 0x180, v13
	v_add_u32_e32 v17, 0x180, v11
	v_lshlrev_b32_e32 v18, 3, v18
	s_addc_u32 s17, s17, s31
	v_add_u32_e32 v19, s7, v19
	v_mov_b32_e32 v8, 0
	v_mov_b32_e32 v9, v10
	s_branch .LBB31_14
.LBB31_13:                              ;   in Loop: Header=BB31_14 Depth=1
	s_or_b64 exec, exec, s[30:31]
	s_waitcnt lgkmcnt(0)
	; wave barrier
	s_waitcnt lgkmcnt(0)
	ds_read2_b64 v[22:25], v18 offset1:1
	ds_read2_b64 v[26:29], v17 offset1:3
	s_add_i32 s24, s24, 1
	s_add_u32 s16, s16, 4
	s_addc_u32 s17, s17, 0
	s_waitcnt lgkmcnt(1)
	v_mov_b32_e32 v30, v25
	s_waitcnt lgkmcnt(0)
	v_pk_fma_f32 v[8:9], v[26:27], v[22:23], v[8:9] op_sel_hi:[1,0,1]
	v_pk_fma_f32 v[8:9], v[26:27], v[22:23], v[8:9] op_sel:[1,1,0] op_sel_hi:[0,1,1] neg_lo:[1,0,0]
	v_pk_fma_f32 v[8:9], v[28:29], v[24:25], v[8:9] op_sel_hi:[1,0,1]
	v_pk_fma_f32 v[8:9], v[28:29], v[30:31], v[8:9] op_sel:[1,0,0] op_sel_hi:[0,0,1] neg_lo:[1,0,0]
	v_add_u32_e32 v19, 6, v19
	s_cmp_ge_i32 s24, s21
	v_add_u32_e32 v20, 6, v20
	s_waitcnt lgkmcnt(0)
	; wave barrier
	s_cbranch_scc1 .LBB31_25
.LBB31_14:                              ; =>This Inner Loop Header: Depth=1
	s_and_saveexec_b64 s[30:31], s[10:11]
	s_xor_b64 s[30:31], exec, s[30:31]
	s_cbranch_execz .LBB31_16
; %bb.15:                               ;   in Loop: Header=BB31_14 Depth=1
	v_mov_b32_e32 v11, v10
	ds_write_b64 v13, v[10:11]
.LBB31_16:                              ;   in Loop: Header=BB31_14 Depth=1
	s_andn2_saveexec_b64 s[30:31], s[30:31]
	s_cbranch_execz .LBB31_21
; %bb.17:                               ;   in Loop: Header=BB31_14 Depth=1
	s_load_dword s7, s[16:17], 0x0
	s_mov_b64 s[36:37], -1
	s_and_b64 vcc, exec, s[28:29]
	s_waitcnt lgkmcnt(0)
	s_sub_i32 s7, s7, s20
	s_lshl_b32 s34, s7, 1
	s_cbranch_vccz .LBB31_19
; %bb.18:                               ;   in Loop: Header=BB31_14 Depth=1
	v_or_b32_e32 v11, s34, v6
	s_ashr_i32 s7, s34, 31
	v_mul_lo_u32 v21, v11, s13
	s_mul_i32 s7, s7, s12
	v_mad_u64_u32 v[22:23], s[36:37], v11, s12, 0
	v_add3_u32 v23, v23, v21, s7
	v_lshlrev_b64 v[22:23], 3, v[22:23]
	v_add_co_u32_e32 v22, vcc, v7, v22
	v_addc_co_u32_e32 v23, vcc, v12, v23, vcc
	global_load_dwordx2 v[22:23], v[22:23], off
	s_mov_b64 s[36:37], 0
	s_waitcnt vmcnt(0)
	ds_write_b64 v13, v[22:23]
.LBB31_19:                              ;   in Loop: Header=BB31_14 Depth=1
	s_andn2_b64 vcc, exec, s[36:37]
	s_cbranch_vccnz .LBB31_21
; %bb.20:                               ;   in Loop: Header=BB31_14 Depth=1
	s_ashr_i32 s35, s34, 31
	s_lshl_b64 s[34:35], s[34:35], 3
	v_mov_b32_e32 v11, s35
	v_add_co_u32_e32 v22, vcc, s34, v14
	v_addc_co_u32_e32 v23, vcc, v15, v11, vcc
	global_load_dwordx2 v[22:23], v[22:23], off
	s_waitcnt vmcnt(0)
	ds_write_b64 v13, v[22:23]
.LBB31_21:                              ;   in Loop: Header=BB31_14 Depth=1
	s_or_b64 exec, exec, s[30:31]
	s_and_saveexec_b64 s[30:31], s[26:27]
	s_cbranch_execz .LBB31_13
; %bb.22:                               ;   in Loop: Header=BB31_14 Depth=1
	v_cndmask_b32_e64 v22, v19, v20, s[8:9]
	v_ashrrev_i32_e32 v23, 31, v22
	v_lshlrev_b64 v[22:23], 3, v[22:23]
	v_mov_b32_e32 v11, s19
	v_add_co_u32_e32 v22, vcc, s18, v22
	v_addc_co_u32_e32 v23, vcc, v11, v23, vcc
	global_load_dwordx2 v[22:23], v[22:23], off
	s_waitcnt vmcnt(0)
	ds_write_b64 v16, v[22:23]
	s_branch .LBB31_13
.LBB31_23:
	v_pk_mov_b32 v[4:5], s[2:3], s[2:3] op_sel:[0,1]
	flat_load_dword v3, v[4:5] offset:4
	s_and_b64 vcc, exec, s[0:1]
	s_waitcnt lgkmcnt(0)
	v_mov_b32_e32 v4, s14
	s_cbranch_vccnz .LBB31_4
.LBB31_24:
	v_pk_mov_b32 v[4:5], s[14:15], s[14:15] op_sel:[0,1]
	flat_load_dword v4, v[4:5]
	s_and_b64 vcc, exec, s[0:1]
	v_mov_b32_e32 v5, s15
	s_cbranch_vccz .LBB31_5
	s_branch .LBB31_6
.LBB31_25:
	s_and_b64 s[0:1], s[2:3], s[0:1]
	s_and_b64 s[0:1], s[22:23], s[0:1]
	s_and_b64 exec, exec, s[0:1]
	s_cbranch_execz .LBB31_30
; %bb.26:
	s_load_dwordx2 s[0:1], s[4:5], 0x58
	v_mad_u64_u32 v[6:7], s[2:3], s6, 3, v[6:7]
	s_waitcnt lgkmcnt(0)
	v_mul_lo_u32 v7, v1, s0
	v_mul_lo_u32 v10, v0, s1
	v_mad_u64_u32 v[0:1], s[0:1], v0, s0, 0
	v_add3_u32 v1, v1, v10, v7
	v_and_b32_e32 v7, 0x7fffffff, v4
	v_cmp_ne_u32_e32 vcc, 0, v7
	v_cmp_neq_f32_e64 s[0:1], 0, v5
	s_or_b64 s[0:1], vcc, s[0:1]
	v_ashrrev_i32_e32 v7, 31, v6
	v_lshlrev_b64 v[0:1], 3, v[0:1]
	s_and_saveexec_b64 s[2:3], s[0:1]
	s_xor_b64 s[0:1], exec, s[2:3]
	s_cbranch_execz .LBB31_28
; %bb.27:
	v_mov_b32_e32 v10, s15
	v_add_co_u32_e32 v11, vcc, s14, v0
	v_addc_co_u32_e32 v10, vcc, v10, v1, vcc
	v_lshlrev_b64 v[0:1], 3, v[6:7]
	v_add_co_u32_e32 v0, vcc, v11, v0
	v_addc_co_u32_e32 v1, vcc, v10, v1, vcc
	global_load_dwordx2 v[6:7], v[0:1], off
	v_xor_b32_e32 v10, 0x80000000, v3
	v_mov_b32_e32 v11, v2
	v_pk_mul_f32 v[10:11], v[8:9], v[10:11] op_sel:[1,0]
	v_pk_fma_f32 v[2:3], v[2:3], v[8:9], v[10:11] op_sel_hi:[1,0,1]
	v_xor_b32_e32 v12, 0x80000000, v5
	v_mov_b32_e32 v13, v4
                                        ; implicit-def: $vgpr8_vgpr9
	s_waitcnt vmcnt(0)
	v_pk_fma_f32 v[2:3], v[4:5], v[6:7], v[2:3] op_sel_hi:[1,0,1]
	v_pk_fma_f32 v[2:3], v[12:13], v[6:7], v[2:3] op_sel:[0,1,0]
	global_store_dwordx2 v[0:1], v[2:3], off
                                        ; implicit-def: $vgpr3
                                        ; implicit-def: $vgpr6_vgpr7
                                        ; implicit-def: $vgpr0_vgpr1
.LBB31_28:
	s_andn2_saveexec_b64 s[0:1], s[0:1]
	s_cbranch_execz .LBB31_30
; %bb.29:
	v_mov_b32_e32 v5, s15
	v_add_co_u32_e32 v10, vcc, s14, v0
	v_addc_co_u32_e32 v5, vcc, v5, v1, vcc
	v_lshlrev_b64 v[0:1], 3, v[6:7]
	v_add_co_u32_e32 v0, vcc, v10, v0
	v_xor_b32_e32 v4, 0x80000000, v3
	v_addc_co_u32_e32 v1, vcc, v5, v1, vcc
	v_mov_b32_e32 v5, v2
	v_pk_mul_f32 v[4:5], v[8:9], v[4:5] op_sel:[1,0]
	v_pk_fma_f32 v[2:3], v[2:3], v[8:9], v[4:5] op_sel_hi:[1,0,1]
	global_store_dwordx2 v[0:1], v[2:3], off
.LBB31_30:
	s_endpgm
	.section	.rodata,"a",@progbits
	.p2align	6, 0x0
	.amdhsa_kernel _ZN9rocsparseL29gebsrmm_small_blockdim_kernelILi3ELi2ELi3ELi16E21rocsparse_complex_numIfEEEv20rocsparse_direction_20rocsparse_operation_iiNS_24const_host_device_scalarIT3_EEPKiS9_PKS6_iiSB_lS7_PS6_l21rocsparse_index_base_b
		.amdhsa_group_segment_fixed_size 456
		.amdhsa_private_segment_fixed_size 0
		.amdhsa_kernarg_size 104
		.amdhsa_user_sgpr_count 6
		.amdhsa_user_sgpr_private_segment_buffer 1
		.amdhsa_user_sgpr_dispatch_ptr 0
		.amdhsa_user_sgpr_queue_ptr 0
		.amdhsa_user_sgpr_kernarg_segment_ptr 1
		.amdhsa_user_sgpr_dispatch_id 0
		.amdhsa_user_sgpr_flat_scratch_init 0
		.amdhsa_user_sgpr_kernarg_preload_length 0
		.amdhsa_user_sgpr_kernarg_preload_offset 0
		.amdhsa_user_sgpr_private_segment_size 0
		.amdhsa_uses_dynamic_stack 0
		.amdhsa_system_sgpr_private_segment_wavefront_offset 0
		.amdhsa_system_sgpr_workgroup_id_x 1
		.amdhsa_system_sgpr_workgroup_id_y 1
		.amdhsa_system_sgpr_workgroup_id_z 0
		.amdhsa_system_sgpr_workgroup_info 0
		.amdhsa_system_vgpr_workitem_id 1
		.amdhsa_next_free_vgpr 32
		.amdhsa_next_free_sgpr 38
		.amdhsa_accum_offset 32
		.amdhsa_reserve_vcc 1
		.amdhsa_reserve_flat_scratch 0
		.amdhsa_float_round_mode_32 0
		.amdhsa_float_round_mode_16_64 0
		.amdhsa_float_denorm_mode_32 3
		.amdhsa_float_denorm_mode_16_64 3
		.amdhsa_dx10_clamp 1
		.amdhsa_ieee_mode 1
		.amdhsa_fp16_overflow 0
		.amdhsa_tg_split 0
		.amdhsa_exception_fp_ieee_invalid_op 0
		.amdhsa_exception_fp_denorm_src 0
		.amdhsa_exception_fp_ieee_div_zero 0
		.amdhsa_exception_fp_ieee_overflow 0
		.amdhsa_exception_fp_ieee_underflow 0
		.amdhsa_exception_fp_ieee_inexact 0
		.amdhsa_exception_int_div_zero 0
	.end_amdhsa_kernel
	.section	.text._ZN9rocsparseL29gebsrmm_small_blockdim_kernelILi3ELi2ELi3ELi16E21rocsparse_complex_numIfEEEv20rocsparse_direction_20rocsparse_operation_iiNS_24const_host_device_scalarIT3_EEPKiS9_PKS6_iiSB_lS7_PS6_l21rocsparse_index_base_b,"axG",@progbits,_ZN9rocsparseL29gebsrmm_small_blockdim_kernelILi3ELi2ELi3ELi16E21rocsparse_complex_numIfEEEv20rocsparse_direction_20rocsparse_operation_iiNS_24const_host_device_scalarIT3_EEPKiS9_PKS6_iiSB_lS7_PS6_l21rocsparse_index_base_b,comdat
.Lfunc_end31:
	.size	_ZN9rocsparseL29gebsrmm_small_blockdim_kernelILi3ELi2ELi3ELi16E21rocsparse_complex_numIfEEEv20rocsparse_direction_20rocsparse_operation_iiNS_24const_host_device_scalarIT3_EEPKiS9_PKS6_iiSB_lS7_PS6_l21rocsparse_index_base_b, .Lfunc_end31-_ZN9rocsparseL29gebsrmm_small_blockdim_kernelILi3ELi2ELi3ELi16E21rocsparse_complex_numIfEEEv20rocsparse_direction_20rocsparse_operation_iiNS_24const_host_device_scalarIT3_EEPKiS9_PKS6_iiSB_lS7_PS6_l21rocsparse_index_base_b
                                        ; -- End function
	.section	.AMDGPU.csdata,"",@progbits
; Kernel info:
; codeLenInByte = 1328
; NumSgprs: 42
; NumVgprs: 32
; NumAgprs: 0
; TotalNumVgprs: 32
; ScratchSize: 0
; MemoryBound: 0
; FloatMode: 240
; IeeeMode: 1
; LDSByteSize: 456 bytes/workgroup (compile time only)
; SGPRBlocks: 5
; VGPRBlocks: 3
; NumSGPRsForWavesPerEU: 42
; NumVGPRsForWavesPerEU: 32
; AccumOffset: 32
; Occupancy: 8
; WaveLimiterHint : 1
; COMPUTE_PGM_RSRC2:SCRATCH_EN: 0
; COMPUTE_PGM_RSRC2:USER_SGPR: 6
; COMPUTE_PGM_RSRC2:TRAP_HANDLER: 0
; COMPUTE_PGM_RSRC2:TGID_X_EN: 1
; COMPUTE_PGM_RSRC2:TGID_Y_EN: 1
; COMPUTE_PGM_RSRC2:TGID_Z_EN: 0
; COMPUTE_PGM_RSRC2:TIDIG_COMP_CNT: 1
; COMPUTE_PGM_RSRC3_GFX90A:ACCUM_OFFSET: 7
; COMPUTE_PGM_RSRC3_GFX90A:TG_SPLIT: 0
	.section	.text._ZN9rocsparseL29gebsrmm_small_blockdim_kernelILi3ELi4ELi4ELi16E21rocsparse_complex_numIfEEEv20rocsparse_direction_20rocsparse_operation_iiNS_24const_host_device_scalarIT3_EEPKiS9_PKS6_iiSB_lS7_PS6_l21rocsparse_index_base_b,"axG",@progbits,_ZN9rocsparseL29gebsrmm_small_blockdim_kernelILi3ELi4ELi4ELi16E21rocsparse_complex_numIfEEEv20rocsparse_direction_20rocsparse_operation_iiNS_24const_host_device_scalarIT3_EEPKiS9_PKS6_iiSB_lS7_PS6_l21rocsparse_index_base_b,comdat
	.globl	_ZN9rocsparseL29gebsrmm_small_blockdim_kernelILi3ELi4ELi4ELi16E21rocsparse_complex_numIfEEEv20rocsparse_direction_20rocsparse_operation_iiNS_24const_host_device_scalarIT3_EEPKiS9_PKS6_iiSB_lS7_PS6_l21rocsparse_index_base_b ; -- Begin function _ZN9rocsparseL29gebsrmm_small_blockdim_kernelILi3ELi4ELi4ELi16E21rocsparse_complex_numIfEEEv20rocsparse_direction_20rocsparse_operation_iiNS_24const_host_device_scalarIT3_EEPKiS9_PKS6_iiSB_lS7_PS6_l21rocsparse_index_base_b
	.p2align	8
	.type	_ZN9rocsparseL29gebsrmm_small_blockdim_kernelILi3ELi4ELi4ELi16E21rocsparse_complex_numIfEEEv20rocsparse_direction_20rocsparse_operation_iiNS_24const_host_device_scalarIT3_EEPKiS9_PKS6_iiSB_lS7_PS6_l21rocsparse_index_base_b,@function
_ZN9rocsparseL29gebsrmm_small_blockdim_kernelILi3ELi4ELi4ELi16E21rocsparse_complex_numIfEEEv20rocsparse_direction_20rocsparse_operation_iiNS_24const_host_device_scalarIT3_EEPKiS9_PKS6_iiSB_lS7_PS6_l21rocsparse_index_base_b: ; @_ZN9rocsparseL29gebsrmm_small_blockdim_kernelILi3ELi4ELi4ELi16E21rocsparse_complex_numIfEEEv20rocsparse_direction_20rocsparse_operation_iiNS_24const_host_device_scalarIT3_EEPKiS9_PKS6_iiSB_lS7_PS6_l21rocsparse_index_base_b
; %bb.0:
	s_load_dwordx2 s[20:21], s[4:5], 0x60
	s_load_dwordx2 s[2:3], s[4:5], 0x10
	s_waitcnt lgkmcnt(0)
	s_bitcmp1_b32 s21, 0
	s_cselect_b64 s[0:1], -1, 0
	s_xor_b64 s[8:9], s[0:1], -1
	s_and_b64 vcc, exec, s[0:1]
	v_mov_b32_e32 v2, s2
	s_cbranch_vccnz .LBB32_2
; %bb.1:
	v_pk_mov_b32 v[2:3], s[2:3], s[2:3] op_sel:[0,1]
	flat_load_dword v2, v[2:3]
.LBB32_2:
	s_load_dwordx4 s[12:15], s[4:5], 0x40
	v_cndmask_b32_e64 v1, 0, 1, s[8:9]
	v_cmp_ne_u32_e64 s[0:1], 1, v1
	s_andn2_b64 vcc, exec, s[8:9]
	v_mov_b32_e32 v3, s3
	s_cbranch_vccz .LBB32_23
; %bb.3:
	s_and_b64 vcc, exec, s[0:1]
	s_waitcnt lgkmcnt(0)
	v_mov_b32_e32 v4, s14
	s_cbranch_vccz .LBB32_24
.LBB32_4:
	s_and_b64 vcc, exec, s[0:1]
	v_mov_b32_e32 v5, s15
	s_cbranch_vccnz .LBB32_6
.LBB32_5:
	v_pk_mov_b32 v[6:7], s[14:15], s[14:15] op_sel:[0,1]
	flat_load_dword v5, v[6:7] offset:4
.LBB32_6:
	s_waitcnt vmcnt(0)
	v_and_b32_e32 v1, 0x7fffffff, v2
	v_cmp_eq_u32_e32 vcc, 0, v1
	v_cmp_eq_f32_e64 s[0:1], 0, v3
	s_and_b64 s[8:9], vcc, s[0:1]
	s_mov_b64 s[0:1], -1
	s_and_saveexec_b64 s[2:3], s[8:9]
	s_cbranch_execz .LBB32_8
; %bb.7:
	s_waitcnt lgkmcnt(0)
	v_and_b32_e32 v1, 0x7fffffff, v5
	v_cmp_neq_f32_e32 vcc, 1.0, v4
	v_cmp_ne_u32_e64 s[0:1], 0, v1
	s_or_b64 s[0:1], vcc, s[0:1]
	s_orn2_b64 s[0:1], s[0:1], exec
.LBB32_8:
	s_or_b64 exec, exec, s[2:3]
	s_and_saveexec_b64 s[2:3], s[0:1]
	s_cbranch_execz .LBB32_30
; %bb.9:
	s_load_dwordx4 s[8:11], s[4:5], 0x0
	s_mov_b32 s24, 0
	s_mov_b32 s21, 0
	s_waitcnt lgkmcnt(0)
	s_cmp_lt_i32 s6, s10
	s_cselect_b64 s[22:23], -1, 0
	s_cmp_ge_i32 s6, s10
	s_cbranch_scc1 .LBB32_11
; %bb.10:
	s_load_dwordx2 s[2:3], s[4:5], 0x18
	s_mov_b32 s0, s7
	s_ashr_i32 s7, s6, 31
	s_lshl_b64 s[14:15], s[6:7], 2
	s_mov_b32 s7, s0
	s_waitcnt lgkmcnt(0)
	s_add_u32 s0, s2, s14
	s_addc_u32 s1, s3, s15
	s_load_dwordx2 s[0:1], s[0:1], 0x0
	s_waitcnt lgkmcnt(0)
	s_sub_i32 s24, s0, s20
	s_sub_i32 s21, s1, s20
.LBB32_11:
	s_load_dwordx2 s[14:15], s[4:5], 0x50
	v_bfe_u32 v10, v0, 10, 10
	v_and_b32_e32 v6, 0x3ff, v0
	v_lshl_add_u32 v0, s7, 4, v10
	v_mov_b32_e32 v9, 0
	v_ashrrev_i32_e32 v1, 31, v0
	v_cmp_gt_i32_e64 s[0:1], s11, v0
	v_cmp_gt_u32_e64 s[2:3], 3, v6
	s_cmp_ge_i32 s24, s21
	v_mov_b32_e32 v8, v9
	s_cbranch_scc1 .LBB32_25
; %bb.12:
	s_load_dwordx4 s[16:19], s[4:5], 0x20
	s_load_dwordx2 s[30:31], s[4:5], 0x38
	v_cmp_lt_u32_e32 vcc, 3, v6
	s_xor_b64 s[10:11], s[0:1], -1
	s_or_b64 s[10:11], vcc, s[10:11]
	v_cmp_gt_u32_e32 vcc, 4, v10
	v_lshlrev_b64 v[8:9], 3, v[0:1]
	s_and_b64 s[26:27], s[2:3], vcc
	s_waitcnt lgkmcnt(0)
	v_mov_b32_e32 v11, s31
	v_add_co_u32_e32 v7, vcc, s30, v8
	v_addc_co_u32_e32 v12, vcc, v11, v9, vcc
	v_mul_lo_u32 v13, v1, s12
	v_mul_lo_u32 v14, v0, s13
	v_mad_u64_u32 v[8:9], s[28:29], v0, s12, 0
	v_add3_u32 v9, v9, v14, v13
	s_cmpk_lg_i32 s9, 0x6f
	v_lshlrev_b64 v[8:9], 3, v[8:9]
	s_cselect_b64 s[28:29], -1, 0
	v_add_co_u32_e32 v8, vcc, s30, v8
	s_cmp_eq_u32 s8, 0
	v_addc_co_u32_e32 v9, vcc, v11, v9, vcc
	v_lshlrev_b32_e32 v11, 3, v6
	s_cselect_b64 s[8:9], -1, 0
	s_ashr_i32 s25, s24, 31
	v_lshlrev_b32_e32 v13, 2, v10
	v_add_co_u32_e32 v14, vcc, v8, v11
	v_lshlrev_b32_e32 v8, 2, v6
	s_lshl_b64 s[30:31], s[24:25], 2
	s_mul_i32 s7, s24, 12
	v_add_lshl_u32 v13, v13, v6, 3
	v_addc_co_u32_e32 v15, vcc, 0, v9, vcc
	v_lshlrev_b32_e32 v18, 5, v10
	s_add_u32 s16, s16, s30
	v_mul_u32_u24_e32 v9, 3, v10
	v_add3_u32 v20, v10, s7, v8
	v_mov_b32_e32 v10, 0
	v_add_u32_e32 v16, 0x200, v13
	v_add_u32_e32 v17, 0x200, v11
	s_addc_u32 s17, s17, s31
	v_add3_u32 v19, v6, s7, v9
	v_mov_b32_e32 v8, 0
	v_mov_b32_e32 v9, v10
	s_branch .LBB32_14
.LBB32_13:                              ;   in Loop: Header=BB32_14 Depth=1
	s_or_b64 exec, exec, s[30:31]
	s_waitcnt lgkmcnt(0)
	; wave barrier
	s_waitcnt lgkmcnt(0)
	ds_read2_b64 v[22:25], v17 offset1:4
	ds_read_b128 v[26:29], v18
	ds_read_b128 v[30:33], v18 offset:16
	ds_read2_b64 v[34:37], v17 offset0:8 offset1:12
	s_add_i32 s24, s24, 1
	s_add_u32 s16, s16, 4
	s_waitcnt lgkmcnt(2)
	v_pk_fma_f32 v[8:9], v[22:23], v[26:27], v[8:9] op_sel_hi:[1,0,1]
	v_pk_fma_f32 v[8:9], v[22:23], v[26:27], v[8:9] op_sel:[1,1,0] op_sel_hi:[0,1,1] neg_lo:[1,0,0]
	v_pk_fma_f32 v[8:9], v[24:25], v[28:29], v[8:9] op_sel_hi:[1,0,1]
	v_mov_b32_e32 v22, v29
	v_pk_fma_f32 v[8:9], v[24:25], v[22:23], v[8:9] op_sel:[1,0,0] op_sel_hi:[0,0,1] neg_lo:[1,0,0]
	s_waitcnt lgkmcnt(0)
	v_pk_fma_f32 v[8:9], v[34:35], v[30:31], v[8:9] op_sel_hi:[1,0,1]
	v_pk_fma_f32 v[8:9], v[34:35], v[30:31], v[8:9] op_sel:[1,1,0] op_sel_hi:[0,1,1] neg_lo:[1,0,0]
	v_pk_fma_f32 v[8:9], v[36:37], v[32:33], v[8:9] op_sel_hi:[1,0,1]
	v_mov_b32_e32 v22, v33
	s_addc_u32 s17, s17, 0
	v_pk_fma_f32 v[8:9], v[36:37], v[22:23], v[8:9] op_sel:[1,0,0] op_sel_hi:[0,0,1] neg_lo:[1,0,0]
	v_add_u32_e32 v19, 12, v19
	s_cmp_ge_i32 s24, s21
	v_add_u32_e32 v20, 12, v20
	s_waitcnt lgkmcnt(0)
	; wave barrier
	s_cbranch_scc1 .LBB32_25
.LBB32_14:                              ; =>This Inner Loop Header: Depth=1
	s_and_saveexec_b64 s[30:31], s[10:11]
	s_xor_b64 s[30:31], exec, s[30:31]
	s_cbranch_execz .LBB32_16
; %bb.15:                               ;   in Loop: Header=BB32_14 Depth=1
	v_mov_b32_e32 v11, v10
	ds_write_b64 v13, v[10:11]
.LBB32_16:                              ;   in Loop: Header=BB32_14 Depth=1
	s_andn2_saveexec_b64 s[30:31], s[30:31]
	s_cbranch_execz .LBB32_21
; %bb.17:                               ;   in Loop: Header=BB32_14 Depth=1
	s_load_dword s7, s[16:17], 0x0
	s_mov_b64 s[36:37], -1
	s_and_b64 vcc, exec, s[28:29]
	s_waitcnt lgkmcnt(0)
	s_sub_i32 s7, s7, s20
	s_lshl_b32 s34, s7, 2
	s_cbranch_vccz .LBB32_19
; %bb.18:                               ;   in Loop: Header=BB32_14 Depth=1
	v_or_b32_e32 v11, s34, v6
	s_ashr_i32 s7, s34, 31
	v_mul_lo_u32 v21, v11, s13
	s_mul_i32 s7, s7, s12
	v_mad_u64_u32 v[22:23], s[36:37], v11, s12, 0
	v_add3_u32 v23, v23, v21, s7
	v_lshlrev_b64 v[22:23], 3, v[22:23]
	v_add_co_u32_e32 v22, vcc, v7, v22
	v_addc_co_u32_e32 v23, vcc, v12, v23, vcc
	global_load_dwordx2 v[22:23], v[22:23], off
	s_mov_b64 s[36:37], 0
	s_waitcnt vmcnt(0)
	ds_write_b64 v13, v[22:23]
.LBB32_19:                              ;   in Loop: Header=BB32_14 Depth=1
	s_andn2_b64 vcc, exec, s[36:37]
	s_cbranch_vccnz .LBB32_21
; %bb.20:                               ;   in Loop: Header=BB32_14 Depth=1
	s_ashr_i32 s35, s34, 31
	s_lshl_b64 s[34:35], s[34:35], 3
	v_mov_b32_e32 v11, s35
	v_add_co_u32_e32 v22, vcc, s34, v14
	v_addc_co_u32_e32 v23, vcc, v15, v11, vcc
	global_load_dwordx2 v[22:23], v[22:23], off
	s_waitcnt vmcnt(0)
	ds_write_b64 v13, v[22:23]
.LBB32_21:                              ;   in Loop: Header=BB32_14 Depth=1
	s_or_b64 exec, exec, s[30:31]
	s_and_saveexec_b64 s[30:31], s[26:27]
	s_cbranch_execz .LBB32_13
; %bb.22:                               ;   in Loop: Header=BB32_14 Depth=1
	v_cndmask_b32_e64 v22, v19, v20, s[8:9]
	v_ashrrev_i32_e32 v23, 31, v22
	v_lshlrev_b64 v[22:23], 3, v[22:23]
	v_mov_b32_e32 v11, s19
	v_add_co_u32_e32 v22, vcc, s18, v22
	v_addc_co_u32_e32 v23, vcc, v11, v23, vcc
	global_load_dwordx2 v[22:23], v[22:23], off
	s_waitcnt vmcnt(0)
	ds_write_b64 v16, v[22:23]
	s_branch .LBB32_13
.LBB32_23:
	v_pk_mov_b32 v[4:5], s[2:3], s[2:3] op_sel:[0,1]
	flat_load_dword v3, v[4:5] offset:4
	s_and_b64 vcc, exec, s[0:1]
	s_waitcnt lgkmcnt(0)
	v_mov_b32_e32 v4, s14
	s_cbranch_vccnz .LBB32_4
.LBB32_24:
	v_pk_mov_b32 v[4:5], s[14:15], s[14:15] op_sel:[0,1]
	flat_load_dword v4, v[4:5]
	s_and_b64 vcc, exec, s[0:1]
	v_mov_b32_e32 v5, s15
	s_cbranch_vccz .LBB32_5
	s_branch .LBB32_6
.LBB32_25:
	s_and_b64 s[0:1], s[2:3], s[0:1]
	s_and_b64 s[0:1], s[22:23], s[0:1]
	s_and_b64 exec, exec, s[0:1]
	s_cbranch_execz .LBB32_30
; %bb.26:
	s_load_dwordx2 s[0:1], s[4:5], 0x58
	v_mad_u64_u32 v[6:7], s[2:3], s6, 3, v[6:7]
	s_waitcnt lgkmcnt(0)
	v_mul_lo_u32 v7, v1, s0
	v_mul_lo_u32 v10, v0, s1
	v_mad_u64_u32 v[0:1], s[0:1], v0, s0, 0
	v_add3_u32 v1, v1, v10, v7
	v_and_b32_e32 v7, 0x7fffffff, v4
	v_cmp_ne_u32_e32 vcc, 0, v7
	v_cmp_neq_f32_e64 s[0:1], 0, v5
	s_or_b64 s[0:1], vcc, s[0:1]
	v_ashrrev_i32_e32 v7, 31, v6
	v_lshlrev_b64 v[0:1], 3, v[0:1]
	s_and_saveexec_b64 s[2:3], s[0:1]
	s_xor_b64 s[0:1], exec, s[2:3]
	s_cbranch_execz .LBB32_28
; %bb.27:
	v_mov_b32_e32 v10, s15
	v_add_co_u32_e32 v11, vcc, s14, v0
	v_addc_co_u32_e32 v10, vcc, v10, v1, vcc
	v_lshlrev_b64 v[0:1], 3, v[6:7]
	v_add_co_u32_e32 v0, vcc, v11, v0
	v_addc_co_u32_e32 v1, vcc, v10, v1, vcc
	global_load_dwordx2 v[6:7], v[0:1], off
	v_xor_b32_e32 v10, 0x80000000, v3
	v_mov_b32_e32 v11, v2
	v_pk_mul_f32 v[10:11], v[8:9], v[10:11] op_sel:[1,0]
	v_pk_fma_f32 v[2:3], v[2:3], v[8:9], v[10:11] op_sel_hi:[1,0,1]
	v_xor_b32_e32 v12, 0x80000000, v5
	v_mov_b32_e32 v13, v4
                                        ; implicit-def: $vgpr8_vgpr9
	s_waitcnt vmcnt(0)
	v_pk_fma_f32 v[2:3], v[4:5], v[6:7], v[2:3] op_sel_hi:[1,0,1]
	v_pk_fma_f32 v[2:3], v[12:13], v[6:7], v[2:3] op_sel:[0,1,0]
	global_store_dwordx2 v[0:1], v[2:3], off
                                        ; implicit-def: $vgpr3
                                        ; implicit-def: $vgpr6_vgpr7
                                        ; implicit-def: $vgpr0_vgpr1
.LBB32_28:
	s_andn2_saveexec_b64 s[0:1], s[0:1]
	s_cbranch_execz .LBB32_30
; %bb.29:
	v_mov_b32_e32 v5, s15
	v_add_co_u32_e32 v10, vcc, s14, v0
	v_addc_co_u32_e32 v5, vcc, v5, v1, vcc
	v_lshlrev_b64 v[0:1], 3, v[6:7]
	v_add_co_u32_e32 v0, vcc, v10, v0
	v_xor_b32_e32 v4, 0x80000000, v3
	v_addc_co_u32_e32 v1, vcc, v5, v1, vcc
	v_mov_b32_e32 v5, v2
	v_pk_mul_f32 v[4:5], v[8:9], v[4:5] op_sel:[1,0]
	v_pk_fma_f32 v[2:3], v[2:3], v[8:9], v[4:5] op_sel_hi:[1,0,1]
	global_store_dwordx2 v[0:1], v[2:3], off
.LBB32_30:
	s_endpgm
	.section	.rodata,"a",@progbits
	.p2align	6, 0x0
	.amdhsa_kernel _ZN9rocsparseL29gebsrmm_small_blockdim_kernelILi3ELi4ELi4ELi16E21rocsparse_complex_numIfEEEv20rocsparse_direction_20rocsparse_operation_iiNS_24const_host_device_scalarIT3_EEPKiS9_PKS6_iiSB_lS7_PS6_l21rocsparse_index_base_b
		.amdhsa_group_segment_fixed_size 640
		.amdhsa_private_segment_fixed_size 0
		.amdhsa_kernarg_size 104
		.amdhsa_user_sgpr_count 6
		.amdhsa_user_sgpr_private_segment_buffer 1
		.amdhsa_user_sgpr_dispatch_ptr 0
		.amdhsa_user_sgpr_queue_ptr 0
		.amdhsa_user_sgpr_kernarg_segment_ptr 1
		.amdhsa_user_sgpr_dispatch_id 0
		.amdhsa_user_sgpr_flat_scratch_init 0
		.amdhsa_user_sgpr_kernarg_preload_length 0
		.amdhsa_user_sgpr_kernarg_preload_offset 0
		.amdhsa_user_sgpr_private_segment_size 0
		.amdhsa_uses_dynamic_stack 0
		.amdhsa_system_sgpr_private_segment_wavefront_offset 0
		.amdhsa_system_sgpr_workgroup_id_x 1
		.amdhsa_system_sgpr_workgroup_id_y 1
		.amdhsa_system_sgpr_workgroup_id_z 0
		.amdhsa_system_sgpr_workgroup_info 0
		.amdhsa_system_vgpr_workitem_id 1
		.amdhsa_next_free_vgpr 38
		.amdhsa_next_free_sgpr 38
		.amdhsa_accum_offset 40
		.amdhsa_reserve_vcc 1
		.amdhsa_reserve_flat_scratch 0
		.amdhsa_float_round_mode_32 0
		.amdhsa_float_round_mode_16_64 0
		.amdhsa_float_denorm_mode_32 3
		.amdhsa_float_denorm_mode_16_64 3
		.amdhsa_dx10_clamp 1
		.amdhsa_ieee_mode 1
		.amdhsa_fp16_overflow 0
		.amdhsa_tg_split 0
		.amdhsa_exception_fp_ieee_invalid_op 0
		.amdhsa_exception_fp_denorm_src 0
		.amdhsa_exception_fp_ieee_div_zero 0
		.amdhsa_exception_fp_ieee_overflow 0
		.amdhsa_exception_fp_ieee_underflow 0
		.amdhsa_exception_fp_ieee_inexact 0
		.amdhsa_exception_int_div_zero 0
	.end_amdhsa_kernel
	.section	.text._ZN9rocsparseL29gebsrmm_small_blockdim_kernelILi3ELi4ELi4ELi16E21rocsparse_complex_numIfEEEv20rocsparse_direction_20rocsparse_operation_iiNS_24const_host_device_scalarIT3_EEPKiS9_PKS6_iiSB_lS7_PS6_l21rocsparse_index_base_b,"axG",@progbits,_ZN9rocsparseL29gebsrmm_small_blockdim_kernelILi3ELi4ELi4ELi16E21rocsparse_complex_numIfEEEv20rocsparse_direction_20rocsparse_operation_iiNS_24const_host_device_scalarIT3_EEPKiS9_PKS6_iiSB_lS7_PS6_l21rocsparse_index_base_b,comdat
.Lfunc_end32:
	.size	_ZN9rocsparseL29gebsrmm_small_blockdim_kernelILi3ELi4ELi4ELi16E21rocsparse_complex_numIfEEEv20rocsparse_direction_20rocsparse_operation_iiNS_24const_host_device_scalarIT3_EEPKiS9_PKS6_iiSB_lS7_PS6_l21rocsparse_index_base_b, .Lfunc_end32-_ZN9rocsparseL29gebsrmm_small_blockdim_kernelILi3ELi4ELi4ELi16E21rocsparse_complex_numIfEEEv20rocsparse_direction_20rocsparse_operation_iiNS_24const_host_device_scalarIT3_EEPKiS9_PKS6_iiSB_lS7_PS6_l21rocsparse_index_base_b
                                        ; -- End function
	.section	.AMDGPU.csdata,"",@progbits
; Kernel info:
; codeLenInByte = 1384
; NumSgprs: 42
; NumVgprs: 38
; NumAgprs: 0
; TotalNumVgprs: 38
; ScratchSize: 0
; MemoryBound: 0
; FloatMode: 240
; IeeeMode: 1
; LDSByteSize: 640 bytes/workgroup (compile time only)
; SGPRBlocks: 5
; VGPRBlocks: 4
; NumSGPRsForWavesPerEU: 42
; NumVGPRsForWavesPerEU: 38
; AccumOffset: 40
; Occupancy: 8
; WaveLimiterHint : 1
; COMPUTE_PGM_RSRC2:SCRATCH_EN: 0
; COMPUTE_PGM_RSRC2:USER_SGPR: 6
; COMPUTE_PGM_RSRC2:TRAP_HANDLER: 0
; COMPUTE_PGM_RSRC2:TGID_X_EN: 1
; COMPUTE_PGM_RSRC2:TGID_Y_EN: 1
; COMPUTE_PGM_RSRC2:TGID_Z_EN: 0
; COMPUTE_PGM_RSRC2:TIDIG_COMP_CNT: 1
; COMPUTE_PGM_RSRC3_GFX90A:ACCUM_OFFSET: 9
; COMPUTE_PGM_RSRC3_GFX90A:TG_SPLIT: 0
	.section	.text._ZN9rocsparseL29gebsrmm_small_blockdim_kernelILi4ELi1ELi4ELi16E21rocsparse_complex_numIfEEEv20rocsparse_direction_20rocsparse_operation_iiNS_24const_host_device_scalarIT3_EEPKiS9_PKS6_iiSB_lS7_PS6_l21rocsparse_index_base_b,"axG",@progbits,_ZN9rocsparseL29gebsrmm_small_blockdim_kernelILi4ELi1ELi4ELi16E21rocsparse_complex_numIfEEEv20rocsparse_direction_20rocsparse_operation_iiNS_24const_host_device_scalarIT3_EEPKiS9_PKS6_iiSB_lS7_PS6_l21rocsparse_index_base_b,comdat
	.globl	_ZN9rocsparseL29gebsrmm_small_blockdim_kernelILi4ELi1ELi4ELi16E21rocsparse_complex_numIfEEEv20rocsparse_direction_20rocsparse_operation_iiNS_24const_host_device_scalarIT3_EEPKiS9_PKS6_iiSB_lS7_PS6_l21rocsparse_index_base_b ; -- Begin function _ZN9rocsparseL29gebsrmm_small_blockdim_kernelILi4ELi1ELi4ELi16E21rocsparse_complex_numIfEEEv20rocsparse_direction_20rocsparse_operation_iiNS_24const_host_device_scalarIT3_EEPKiS9_PKS6_iiSB_lS7_PS6_l21rocsparse_index_base_b
	.p2align	8
	.type	_ZN9rocsparseL29gebsrmm_small_blockdim_kernelILi4ELi1ELi4ELi16E21rocsparse_complex_numIfEEEv20rocsparse_direction_20rocsparse_operation_iiNS_24const_host_device_scalarIT3_EEPKiS9_PKS6_iiSB_lS7_PS6_l21rocsparse_index_base_b,@function
_ZN9rocsparseL29gebsrmm_small_blockdim_kernelILi4ELi1ELi4ELi16E21rocsparse_complex_numIfEEEv20rocsparse_direction_20rocsparse_operation_iiNS_24const_host_device_scalarIT3_EEPKiS9_PKS6_iiSB_lS7_PS6_l21rocsparse_index_base_b: ; @_ZN9rocsparseL29gebsrmm_small_blockdim_kernelILi4ELi1ELi4ELi16E21rocsparse_complex_numIfEEEv20rocsparse_direction_20rocsparse_operation_iiNS_24const_host_device_scalarIT3_EEPKiS9_PKS6_iiSB_lS7_PS6_l21rocsparse_index_base_b
; %bb.0:
	s_load_dwordx2 s[20:21], s[4:5], 0x60
	s_load_dwordx2 s[2:3], s[4:5], 0x10
	s_waitcnt lgkmcnt(0)
	s_bitcmp1_b32 s21, 0
	s_cselect_b64 s[0:1], -1, 0
	s_xor_b64 s[12:13], s[0:1], -1
	s_and_b64 vcc, exec, s[0:1]
	v_mov_b32_e32 v2, s2
	s_cbranch_vccnz .LBB33_2
; %bb.1:
	v_pk_mov_b32 v[2:3], s[2:3], s[2:3] op_sel:[0,1]
	flat_load_dword v2, v[2:3]
.LBB33_2:
	s_load_dwordx4 s[8:11], s[4:5], 0x40
	v_cndmask_b32_e64 v1, 0, 1, s[12:13]
	v_cmp_ne_u32_e64 s[0:1], 1, v1
	s_andn2_b64 vcc, exec, s[12:13]
	v_mov_b32_e32 v3, s3
	s_cbranch_vccz .LBB33_23
; %bb.3:
	s_and_b64 vcc, exec, s[0:1]
	s_waitcnt lgkmcnt(0)
	v_mov_b32_e32 v4, s10
	s_cbranch_vccz .LBB33_24
.LBB33_4:
	s_and_b64 vcc, exec, s[0:1]
	v_mov_b32_e32 v5, s11
	s_cbranch_vccnz .LBB33_6
.LBB33_5:
	v_pk_mov_b32 v[6:7], s[10:11], s[10:11] op_sel:[0,1]
	flat_load_dword v5, v[6:7] offset:4
.LBB33_6:
	s_waitcnt vmcnt(0)
	v_and_b32_e32 v1, 0x7fffffff, v2
	v_cmp_eq_u32_e32 vcc, 0, v1
	v_cmp_eq_f32_e64 s[0:1], 0, v3
	s_and_b64 s[10:11], vcc, s[0:1]
	s_mov_b64 s[0:1], -1
	s_and_saveexec_b64 s[2:3], s[10:11]
	s_cbranch_execz .LBB33_8
; %bb.7:
	s_waitcnt lgkmcnt(0)
	v_and_b32_e32 v1, 0x7fffffff, v5
	v_cmp_neq_f32_e32 vcc, 1.0, v4
	v_cmp_ne_u32_e64 s[0:1], 0, v1
	s_or_b64 s[0:1], vcc, s[0:1]
	s_orn2_b64 s[0:1], s[0:1], exec
.LBB33_8:
	s_or_b64 exec, exec, s[2:3]
	s_and_saveexec_b64 s[2:3], s[0:1]
	s_cbranch_execz .LBB33_30
; %bb.9:
	s_load_dwordx4 s[16:19], s[4:5], 0x4
	s_mov_b32 s24, 0
	s_mov_b32 s21, 0
	s_waitcnt lgkmcnt(0)
	s_cmp_lt_i32 s6, s17
	s_cselect_b64 s[22:23], -1, 0
	s_cmp_ge_i32 s6, s17
	s_cbranch_scc1 .LBB33_11
; %bb.10:
	s_load_dwordx2 s[2:3], s[4:5], 0x18
	s_mov_b32 s0, s7
	s_ashr_i32 s7, s6, 31
	s_lshl_b64 s[10:11], s[6:7], 2
	s_mov_b32 s7, s0
	s_waitcnt lgkmcnt(0)
	s_add_u32 s0, s2, s10
	s_addc_u32 s1, s3, s11
	s_load_dwordx2 s[0:1], s[0:1], 0x0
	s_waitcnt lgkmcnt(0)
	s_sub_i32 s24, s0, s20
	s_sub_i32 s21, s1, s20
.LBB33_11:
	s_load_dwordx2 s[10:11], s[4:5], 0x50
	v_bfe_u32 v8, v0, 10, 10
	v_and_b32_e32 v12, 0x3ff, v0
	v_lshl_add_u32 v6, s7, 4, v8
	v_mov_b32_e32 v1, 0
	v_ashrrev_i32_e32 v7, 31, v6
	v_cmp_gt_i32_e64 s[0:1], s18, v6
	v_cmp_gt_u32_e64 s[2:3], 4, v12
	s_cmp_ge_i32 s24, s21
	v_mov_b32_e32 v0, v1
	s_cbranch_scc1 .LBB33_25
; %bb.12:
	s_load_dwordx4 s[12:15], s[4:5], 0x20
	s_load_dwordx2 s[28:29], s[4:5], 0x38
	v_cmp_ne_u32_e32 vcc, 0, v12
	s_xor_b64 s[18:19], s[0:1], -1
	s_or_b64 s[18:19], vcc, s[18:19]
	v_cmp_eq_u32_e32 vcc, 0, v8
	v_lshlrev_b64 v[0:1], 3, v[6:7]
	s_and_b64 s[26:27], s[2:3], vcc
	s_waitcnt lgkmcnt(0)
	v_mov_b32_e32 v9, s29
	v_add_co_u32_e32 v13, vcc, s28, v0
	v_addc_co_u32_e32 v14, vcc, v9, v1, vcc
	v_mul_lo_u32 v10, v7, s8
	v_mul_lo_u32 v11, v6, s9
	v_mad_u64_u32 v[0:1], s[30:31], v6, s8, 0
	v_add3_u32 v1, v1, v11, v10
	s_cmpk_lg_i32 s16, 0x6f
	s_cselect_b64 s[16:17], -1, 0
	v_lshlrev_b64 v[0:1], 3, v[0:1]
	s_ashr_i32 s25, s24, 31
	v_lshlrev_b32_e32 v10, 2, v8
	v_add_co_u32_e32 v16, vcc, s28, v0
	s_lshl_b64 s[28:29], s[24:25], 2
	v_add_lshl_u32 v15, v10, v12, 3
	v_mov_b32_e32 v0, 0x200
	s_add_u32 s12, s12, s28
	v_mov_b32_e32 v10, 0
	v_addc_co_u32_e32 v17, vcc, v9, v1, vcc
	v_add_u32_e32 v18, 0x200, v15
	v_lshl_add_u32 v19, v12, 3, v0
	v_lshlrev_b32_e32 v20, 5, v8
	s_addc_u32 s13, s13, s29
	v_lshl_add_u32 v8, s24, 2, v12
	v_mov_b32_e32 v0, 0
	v_mov_b32_e32 v1, v10
	s_branch .LBB33_14
.LBB33_13:                              ;   in Loop: Header=BB33_14 Depth=1
	s_or_b64 exec, exec, s[28:29]
	s_waitcnt lgkmcnt(0)
	; wave barrier
	s_waitcnt lgkmcnt(0)
	ds_read_b64 v[22:23], v20
	ds_read_b64 v[24:25], v19
	s_add_i32 s24, s24, 1
	s_add_u32 s12, s12, 4
	s_addc_u32 s13, s13, 0
	s_cmp_ge_i32 s24, s21
	s_waitcnt lgkmcnt(0)
	v_pk_fma_f32 v[0:1], v[24:25], v[22:23], v[0:1] op_sel_hi:[1,0,1]
	v_pk_fma_f32 v[0:1], v[24:25], v[22:23], v[0:1] op_sel:[1,1,0] op_sel_hi:[0,1,1] neg_lo:[1,0,0]
	v_add_u32_e32 v8, 4, v8
	s_waitcnt lgkmcnt(0)
	; wave barrier
	s_cbranch_scc1 .LBB33_25
.LBB33_14:                              ; =>This Inner Loop Header: Depth=1
	s_and_saveexec_b64 s[28:29], s[18:19]
	s_xor_b64 s[28:29], exec, s[28:29]
	s_cbranch_execz .LBB33_16
; %bb.15:                               ;   in Loop: Header=BB33_14 Depth=1
	v_mov_b32_e32 v11, v10
	ds_write_b64 v15, v[10:11]
.LBB33_16:                              ;   in Loop: Header=BB33_14 Depth=1
	s_andn2_saveexec_b64 s[28:29], s[28:29]
	s_cbranch_execz .LBB33_21
; %bb.17:                               ;   in Loop: Header=BB33_14 Depth=1
	s_load_dword s7, s[12:13], 0x0
	s_mov_b64 s[34:35], -1
	s_and_b64 vcc, exec, s[16:17]
	s_waitcnt lgkmcnt(0)
	s_sub_i32 s30, s7, s20
	s_ashr_i32 s31, s30, 31
	s_cbranch_vccz .LBB33_19
; %bb.18:                               ;   in Loop: Header=BB33_14 Depth=1
	s_mul_i32 s7, s30, s9
	s_mul_hi_u32 s25, s30, s8
	s_add_i32 s7, s25, s7
	s_mul_i32 s25, s31, s8
	s_add_i32 s35, s7, s25
	s_mul_i32 s34, s30, s8
	s_lshl_b64 s[34:35], s[34:35], 3
	v_mov_b32_e32 v9, s35
	v_add_co_u32_e32 v22, vcc, s34, v13
	v_addc_co_u32_e32 v23, vcc, v14, v9, vcc
	global_load_dwordx2 v[22:23], v[22:23], off
	s_mov_b64 s[34:35], 0
	s_waitcnt vmcnt(0)
	ds_write_b64 v15, v[22:23]
.LBB33_19:                              ;   in Loop: Header=BB33_14 Depth=1
	s_andn2_b64 vcc, exec, s[34:35]
	s_cbranch_vccnz .LBB33_21
; %bb.20:                               ;   in Loop: Header=BB33_14 Depth=1
	s_lshl_b64 s[30:31], s[30:31], 3
	v_mov_b32_e32 v9, s31
	v_add_co_u32_e32 v22, vcc, s30, v16
	v_addc_co_u32_e32 v23, vcc, v17, v9, vcc
	global_load_dwordx2 v[22:23], v[22:23], off
	s_waitcnt vmcnt(0)
	ds_write_b64 v15, v[22:23]
.LBB33_21:                              ;   in Loop: Header=BB33_14 Depth=1
	s_or_b64 exec, exec, s[28:29]
	s_and_saveexec_b64 s[28:29], s[26:27]
	s_cbranch_execz .LBB33_13
; %bb.22:                               ;   in Loop: Header=BB33_14 Depth=1
	v_ashrrev_i32_e32 v9, 31, v8
	v_lshlrev_b64 v[22:23], 3, v[8:9]
	v_mov_b32_e32 v9, s15
	v_add_co_u32_e32 v22, vcc, s14, v22
	v_addc_co_u32_e32 v23, vcc, v9, v23, vcc
	global_load_dwordx2 v[22:23], v[22:23], off
	s_waitcnt vmcnt(0)
	ds_write_b64 v18, v[22:23]
	s_branch .LBB33_13
.LBB33_23:
	v_pk_mov_b32 v[4:5], s[2:3], s[2:3] op_sel:[0,1]
	flat_load_dword v3, v[4:5] offset:4
	s_and_b64 vcc, exec, s[0:1]
	s_waitcnt lgkmcnt(0)
	v_mov_b32_e32 v4, s10
	s_cbranch_vccnz .LBB33_4
.LBB33_24:
	v_pk_mov_b32 v[4:5], s[10:11], s[10:11] op_sel:[0,1]
	flat_load_dword v4, v[4:5]
	s_and_b64 vcc, exec, s[0:1]
	v_mov_b32_e32 v5, s11
	s_cbranch_vccz .LBB33_5
	s_branch .LBB33_6
.LBB33_25:
	s_and_b64 s[0:1], s[2:3], s[0:1]
	s_and_b64 s[0:1], s[22:23], s[0:1]
	s_and_b64 exec, exec, s[0:1]
	s_cbranch_execz .LBB33_30
; %bb.26:
	s_load_dwordx2 s[0:1], s[4:5], 0x58
	v_lshl_add_u32 v8, s6, 2, v12
	s_waitcnt lgkmcnt(0)
	v_mul_lo_u32 v9, v7, s0
	v_mul_lo_u32 v10, v6, s1
	v_mad_u64_u32 v[6:7], s[0:1], v6, s0, 0
	v_add3_u32 v7, v7, v10, v9
	v_and_b32_e32 v9, 0x7fffffff, v4
	v_cmp_ne_u32_e32 vcc, 0, v9
	v_cmp_neq_f32_e64 s[0:1], 0, v5
	s_or_b64 s[0:1], vcc, s[0:1]
	v_ashrrev_i32_e32 v9, 31, v8
	v_lshlrev_b64 v[6:7], 3, v[6:7]
	s_and_saveexec_b64 s[2:3], s[0:1]
	s_xor_b64 s[0:1], exec, s[2:3]
	s_cbranch_execz .LBB33_28
; %bb.27:
	v_mov_b32_e32 v10, s11
	v_add_co_u32_e32 v11, vcc, s10, v6
	v_addc_co_u32_e32 v10, vcc, v10, v7, vcc
	v_lshlrev_b64 v[6:7], 3, v[8:9]
	v_add_co_u32_e32 v6, vcc, v11, v6
	v_addc_co_u32_e32 v7, vcc, v10, v7, vcc
	global_load_dwordx2 v[8:9], v[6:7], off
	v_xor_b32_e32 v10, 0x80000000, v3
	v_mov_b32_e32 v11, v2
	v_pk_mul_f32 v[10:11], v[0:1], v[10:11] op_sel:[1,0]
	v_pk_fma_f32 v[0:1], v[2:3], v[0:1], v[10:11] op_sel_hi:[1,0,1]
	v_xor_b32_e32 v12, 0x80000000, v5
	v_mov_b32_e32 v13, v4
                                        ; implicit-def: $vgpr3
	s_waitcnt vmcnt(0)
	v_pk_fma_f32 v[0:1], v[4:5], v[8:9], v[0:1] op_sel_hi:[1,0,1]
	v_pk_fma_f32 v[0:1], v[12:13], v[8:9], v[0:1] op_sel:[0,1,0]
	global_store_dwordx2 v[6:7], v[0:1], off
                                        ; implicit-def: $vgpr8
                                        ; implicit-def: $vgpr6_vgpr7
                                        ; implicit-def: $vgpr0_vgpr1
.LBB33_28:
	s_andn2_saveexec_b64 s[0:1], s[0:1]
	s_cbranch_execz .LBB33_30
; %bb.29:
	v_mov_b32_e32 v5, s11
	v_add_co_u32_e32 v10, vcc, s10, v6
	v_addc_co_u32_e32 v5, vcc, v5, v7, vcc
	v_lshlrev_b64 v[6:7], 3, v[8:9]
	v_add_co_u32_e32 v6, vcc, v10, v6
	v_xor_b32_e32 v4, 0x80000000, v3
	v_addc_co_u32_e32 v7, vcc, v5, v7, vcc
	v_mov_b32_e32 v5, v2
	v_pk_mul_f32 v[4:5], v[0:1], v[4:5] op_sel:[1,0]
	v_pk_fma_f32 v[0:1], v[2:3], v[0:1], v[4:5] op_sel_hi:[1,0,1]
	global_store_dwordx2 v[6:7], v[0:1], off
.LBB33_30:
	s_endpgm
	.section	.rodata,"a",@progbits
	.p2align	6, 0x0
	.amdhsa_kernel _ZN9rocsparseL29gebsrmm_small_blockdim_kernelILi4ELi1ELi4ELi16E21rocsparse_complex_numIfEEEv20rocsparse_direction_20rocsparse_operation_iiNS_24const_host_device_scalarIT3_EEPKiS9_PKS6_iiSB_lS7_PS6_l21rocsparse_index_base_b
		.amdhsa_group_segment_fixed_size 640
		.amdhsa_private_segment_fixed_size 0
		.amdhsa_kernarg_size 104
		.amdhsa_user_sgpr_count 6
		.amdhsa_user_sgpr_private_segment_buffer 1
		.amdhsa_user_sgpr_dispatch_ptr 0
		.amdhsa_user_sgpr_queue_ptr 0
		.amdhsa_user_sgpr_kernarg_segment_ptr 1
		.amdhsa_user_sgpr_dispatch_id 0
		.amdhsa_user_sgpr_flat_scratch_init 0
		.amdhsa_user_sgpr_kernarg_preload_length 0
		.amdhsa_user_sgpr_kernarg_preload_offset 0
		.amdhsa_user_sgpr_private_segment_size 0
		.amdhsa_uses_dynamic_stack 0
		.amdhsa_system_sgpr_private_segment_wavefront_offset 0
		.amdhsa_system_sgpr_workgroup_id_x 1
		.amdhsa_system_sgpr_workgroup_id_y 1
		.amdhsa_system_sgpr_workgroup_id_z 0
		.amdhsa_system_sgpr_workgroup_info 0
		.amdhsa_system_vgpr_workitem_id 1
		.amdhsa_next_free_vgpr 26
		.amdhsa_next_free_sgpr 36
		.amdhsa_accum_offset 28
		.amdhsa_reserve_vcc 1
		.amdhsa_reserve_flat_scratch 0
		.amdhsa_float_round_mode_32 0
		.amdhsa_float_round_mode_16_64 0
		.amdhsa_float_denorm_mode_32 3
		.amdhsa_float_denorm_mode_16_64 3
		.amdhsa_dx10_clamp 1
		.amdhsa_ieee_mode 1
		.amdhsa_fp16_overflow 0
		.amdhsa_tg_split 0
		.amdhsa_exception_fp_ieee_invalid_op 0
		.amdhsa_exception_fp_denorm_src 0
		.amdhsa_exception_fp_ieee_div_zero 0
		.amdhsa_exception_fp_ieee_overflow 0
		.amdhsa_exception_fp_ieee_underflow 0
		.amdhsa_exception_fp_ieee_inexact 0
		.amdhsa_exception_int_div_zero 0
	.end_amdhsa_kernel
	.section	.text._ZN9rocsparseL29gebsrmm_small_blockdim_kernelILi4ELi1ELi4ELi16E21rocsparse_complex_numIfEEEv20rocsparse_direction_20rocsparse_operation_iiNS_24const_host_device_scalarIT3_EEPKiS9_PKS6_iiSB_lS7_PS6_l21rocsparse_index_base_b,"axG",@progbits,_ZN9rocsparseL29gebsrmm_small_blockdim_kernelILi4ELi1ELi4ELi16E21rocsparse_complex_numIfEEEv20rocsparse_direction_20rocsparse_operation_iiNS_24const_host_device_scalarIT3_EEPKiS9_PKS6_iiSB_lS7_PS6_l21rocsparse_index_base_b,comdat
.Lfunc_end33:
	.size	_ZN9rocsparseL29gebsrmm_small_blockdim_kernelILi4ELi1ELi4ELi16E21rocsparse_complex_numIfEEEv20rocsparse_direction_20rocsparse_operation_iiNS_24const_host_device_scalarIT3_EEPKiS9_PKS6_iiSB_lS7_PS6_l21rocsparse_index_base_b, .Lfunc_end33-_ZN9rocsparseL29gebsrmm_small_blockdim_kernelILi4ELi1ELi4ELi16E21rocsparse_complex_numIfEEEv20rocsparse_direction_20rocsparse_operation_iiNS_24const_host_device_scalarIT3_EEPKiS9_PKS6_iiSB_lS7_PS6_l21rocsparse_index_base_b
                                        ; -- End function
	.section	.AMDGPU.csdata,"",@progbits
; Kernel info:
; codeLenInByte = 1248
; NumSgprs: 40
; NumVgprs: 26
; NumAgprs: 0
; TotalNumVgprs: 26
; ScratchSize: 0
; MemoryBound: 0
; FloatMode: 240
; IeeeMode: 1
; LDSByteSize: 640 bytes/workgroup (compile time only)
; SGPRBlocks: 4
; VGPRBlocks: 3
; NumSGPRsForWavesPerEU: 40
; NumVGPRsForWavesPerEU: 26
; AccumOffset: 28
; Occupancy: 8
; WaveLimiterHint : 1
; COMPUTE_PGM_RSRC2:SCRATCH_EN: 0
; COMPUTE_PGM_RSRC2:USER_SGPR: 6
; COMPUTE_PGM_RSRC2:TRAP_HANDLER: 0
; COMPUTE_PGM_RSRC2:TGID_X_EN: 1
; COMPUTE_PGM_RSRC2:TGID_Y_EN: 1
; COMPUTE_PGM_RSRC2:TGID_Z_EN: 0
; COMPUTE_PGM_RSRC2:TIDIG_COMP_CNT: 1
; COMPUTE_PGM_RSRC3_GFX90A:ACCUM_OFFSET: 6
; COMPUTE_PGM_RSRC3_GFX90A:TG_SPLIT: 0
	.section	.text._ZN9rocsparseL29gebsrmm_small_blockdim_kernelILi4ELi2ELi4ELi16E21rocsparse_complex_numIfEEEv20rocsparse_direction_20rocsparse_operation_iiNS_24const_host_device_scalarIT3_EEPKiS9_PKS6_iiSB_lS7_PS6_l21rocsparse_index_base_b,"axG",@progbits,_ZN9rocsparseL29gebsrmm_small_blockdim_kernelILi4ELi2ELi4ELi16E21rocsparse_complex_numIfEEEv20rocsparse_direction_20rocsparse_operation_iiNS_24const_host_device_scalarIT3_EEPKiS9_PKS6_iiSB_lS7_PS6_l21rocsparse_index_base_b,comdat
	.globl	_ZN9rocsparseL29gebsrmm_small_blockdim_kernelILi4ELi2ELi4ELi16E21rocsparse_complex_numIfEEEv20rocsparse_direction_20rocsparse_operation_iiNS_24const_host_device_scalarIT3_EEPKiS9_PKS6_iiSB_lS7_PS6_l21rocsparse_index_base_b ; -- Begin function _ZN9rocsparseL29gebsrmm_small_blockdim_kernelILi4ELi2ELi4ELi16E21rocsparse_complex_numIfEEEv20rocsparse_direction_20rocsparse_operation_iiNS_24const_host_device_scalarIT3_EEPKiS9_PKS6_iiSB_lS7_PS6_l21rocsparse_index_base_b
	.p2align	8
	.type	_ZN9rocsparseL29gebsrmm_small_blockdim_kernelILi4ELi2ELi4ELi16E21rocsparse_complex_numIfEEEv20rocsparse_direction_20rocsparse_operation_iiNS_24const_host_device_scalarIT3_EEPKiS9_PKS6_iiSB_lS7_PS6_l21rocsparse_index_base_b,@function
_ZN9rocsparseL29gebsrmm_small_blockdim_kernelILi4ELi2ELi4ELi16E21rocsparse_complex_numIfEEEv20rocsparse_direction_20rocsparse_operation_iiNS_24const_host_device_scalarIT3_EEPKiS9_PKS6_iiSB_lS7_PS6_l21rocsparse_index_base_b: ; @_ZN9rocsparseL29gebsrmm_small_blockdim_kernelILi4ELi2ELi4ELi16E21rocsparse_complex_numIfEEEv20rocsparse_direction_20rocsparse_operation_iiNS_24const_host_device_scalarIT3_EEPKiS9_PKS6_iiSB_lS7_PS6_l21rocsparse_index_base_b
; %bb.0:
	s_load_dwordx2 s[20:21], s[4:5], 0x60
	s_load_dwordx2 s[2:3], s[4:5], 0x10
	s_waitcnt lgkmcnt(0)
	s_bitcmp1_b32 s21, 0
	s_cselect_b64 s[0:1], -1, 0
	s_xor_b64 s[12:13], s[0:1], -1
	s_and_b64 vcc, exec, s[0:1]
	v_mov_b32_e32 v2, s2
	s_cbranch_vccnz .LBB34_2
; %bb.1:
	v_pk_mov_b32 v[2:3], s[2:3], s[2:3] op_sel:[0,1]
	flat_load_dword v2, v[2:3]
.LBB34_2:
	s_load_dwordx4 s[8:11], s[4:5], 0x40
	v_cndmask_b32_e64 v1, 0, 1, s[12:13]
	v_cmp_ne_u32_e64 s[0:1], 1, v1
	s_andn2_b64 vcc, exec, s[12:13]
	v_mov_b32_e32 v3, s3
	s_cbranch_vccz .LBB34_23
; %bb.3:
	s_and_b64 vcc, exec, s[0:1]
	s_waitcnt lgkmcnt(0)
	v_mov_b32_e32 v4, s10
	s_cbranch_vccz .LBB34_24
.LBB34_4:
	s_and_b64 vcc, exec, s[0:1]
	v_mov_b32_e32 v5, s11
	s_cbranch_vccnz .LBB34_6
.LBB34_5:
	v_pk_mov_b32 v[6:7], s[10:11], s[10:11] op_sel:[0,1]
	flat_load_dword v5, v[6:7] offset:4
.LBB34_6:
	s_waitcnt vmcnt(0)
	v_and_b32_e32 v1, 0x7fffffff, v2
	v_cmp_eq_u32_e32 vcc, 0, v1
	v_cmp_eq_f32_e64 s[0:1], 0, v3
	s_and_b64 s[10:11], vcc, s[0:1]
	s_mov_b64 s[0:1], -1
	s_and_saveexec_b64 s[2:3], s[10:11]
	s_cbranch_execz .LBB34_8
; %bb.7:
	s_waitcnt lgkmcnt(0)
	v_and_b32_e32 v1, 0x7fffffff, v5
	v_cmp_neq_f32_e32 vcc, 1.0, v4
	v_cmp_ne_u32_e64 s[0:1], 0, v1
	s_or_b64 s[0:1], vcc, s[0:1]
	s_orn2_b64 s[0:1], s[0:1], exec
.LBB34_8:
	s_or_b64 exec, exec, s[2:3]
	s_and_saveexec_b64 s[2:3], s[0:1]
	s_cbranch_execz .LBB34_30
; %bb.9:
	s_load_dwordx4 s[16:19], s[4:5], 0x0
	s_mov_b32 s24, 0
	s_mov_b32 s21, 0
	s_waitcnt lgkmcnt(0)
	s_cmp_lt_i32 s6, s18
	s_cselect_b64 s[22:23], -1, 0
	s_cmp_ge_i32 s6, s18
	s_cbranch_scc1 .LBB34_11
; %bb.10:
	s_load_dwordx2 s[2:3], s[4:5], 0x18
	s_mov_b32 s0, s7
	s_ashr_i32 s7, s6, 31
	s_lshl_b64 s[10:11], s[6:7], 2
	s_mov_b32 s7, s0
	s_waitcnt lgkmcnt(0)
	s_add_u32 s0, s2, s10
	s_addc_u32 s1, s3, s11
	s_load_dwordx2 s[0:1], s[0:1], 0x0
	s_waitcnt lgkmcnt(0)
	s_sub_i32 s24, s0, s20
	s_sub_i32 s21, s1, s20
.LBB34_11:
	s_load_dwordx2 s[10:11], s[4:5], 0x50
	v_bfe_u32 v8, v0, 10, 10
	v_and_b32_e32 v12, 0x3ff, v0
	v_lshl_add_u32 v0, s7, 4, v8
	v_mov_b32_e32 v7, 0
	v_ashrrev_i32_e32 v1, 31, v0
	v_cmp_gt_i32_e64 s[0:1], s19, v0
	v_cmp_gt_u32_e64 s[2:3], 4, v12
	s_cmp_ge_i32 s24, s21
	v_mov_b32_e32 v6, v7
	s_cbranch_scc1 .LBB34_25
; %bb.12:
	s_load_dwordx4 s[12:15], s[4:5], 0x20
	s_load_dwordx2 s[30:31], s[4:5], 0x38
	v_cmp_lt_u32_e32 vcc, 1, v12
	s_xor_b64 s[18:19], s[0:1], -1
	s_or_b64 s[18:19], vcc, s[18:19]
	v_cmp_gt_u32_e32 vcc, 2, v8
	v_lshlrev_b64 v[6:7], 3, v[0:1]
	s_and_b64 s[26:27], s[2:3], vcc
	s_waitcnt lgkmcnt(0)
	v_mov_b32_e32 v9, s31
	v_add_co_u32_e32 v13, vcc, s30, v6
	v_addc_co_u32_e32 v14, vcc, v9, v7, vcc
	v_mul_lo_u32 v10, v1, s8
	v_mul_lo_u32 v11, v0, s9
	v_mad_u64_u32 v[6:7], s[28:29], v0, s8, 0
	v_add3_u32 v7, v7, v11, v10
	v_lshlrev_b64 v[6:7], 3, v[6:7]
	v_add_co_u32_e32 v6, vcc, s30, v6
	v_addc_co_u32_e32 v7, vcc, v9, v7, vcc
	v_lshlrev_b32_e32 v9, 3, v12
	s_cmpk_lg_i32 s17, 0x6f
	v_add_co_u32_e32 v16, vcc, v6, v9
	s_cselect_b64 s[28:29], -1, 0
	v_addc_co_u32_e32 v17, vcc, 0, v7, vcc
	s_cmp_eq_u32 s16, 0
	s_cselect_b64 vcc, -1, 0
	s_ashr_i32 s25, s24, 31
	s_lshl_b64 s[16:17], s[24:25], 2
	v_lshlrev_b32_e32 v10, 2, v8
	v_lshlrev_b32_e32 v6, 1, v12
	s_add_u32 s12, s12, s16
	v_add_lshl_u32 v15, v10, v12, 3
	v_cndmask_b32_e32 v6, v10, v6, vcc
	v_cndmask_b32_e32 v7, v12, v8, vcc
	s_addc_u32 s13, s13, s17
	s_lshl_b32 s7, s24, 3
	v_mov_b32_e32 v10, 0
	v_add_u32_e32 v18, 0x200, v15
	v_add_u32_e32 v19, 0x200, v9
	v_lshlrev_b32_e32 v20, 5, v8
	v_add3_u32 v8, v7, v6, s7
	v_mov_b32_e32 v6, 0
	v_mov_b32_e32 v7, v10
	s_branch .LBB34_14
.LBB34_13:                              ;   in Loop: Header=BB34_14 Depth=1
	s_or_b64 exec, exec, s[16:17]
	s_waitcnt lgkmcnt(0)
	; wave barrier
	s_waitcnt lgkmcnt(0)
	ds_read_b128 v[22:25], v20
	ds_read2_b64 v[26:29], v19 offset1:4
	s_add_i32 s24, s24, 1
	s_add_u32 s12, s12, 4
	s_addc_u32 s13, s13, 0
	s_waitcnt lgkmcnt(1)
	v_mov_b32_e32 v30, v25
	s_waitcnt lgkmcnt(0)
	v_pk_fma_f32 v[6:7], v[26:27], v[22:23], v[6:7] op_sel_hi:[1,0,1]
	v_pk_fma_f32 v[6:7], v[26:27], v[22:23], v[6:7] op_sel:[1,1,0] op_sel_hi:[0,1,1] neg_lo:[1,0,0]
	v_pk_fma_f32 v[6:7], v[28:29], v[24:25], v[6:7] op_sel_hi:[1,0,1]
	v_pk_fma_f32 v[6:7], v[28:29], v[30:31], v[6:7] op_sel:[1,0,0] op_sel_hi:[0,0,1] neg_lo:[1,0,0]
	s_cmp_ge_i32 s24, s21
	v_add_u32_e32 v8, 8, v8
	s_waitcnt lgkmcnt(0)
	; wave barrier
	s_cbranch_scc1 .LBB34_25
.LBB34_14:                              ; =>This Inner Loop Header: Depth=1
	s_and_saveexec_b64 s[16:17], s[18:19]
	s_xor_b64 s[16:17], exec, s[16:17]
	s_cbranch_execz .LBB34_16
; %bb.15:                               ;   in Loop: Header=BB34_14 Depth=1
	v_mov_b32_e32 v11, v10
	ds_write_b64 v15, v[10:11]
.LBB34_16:                              ;   in Loop: Header=BB34_14 Depth=1
	s_andn2_saveexec_b64 s[16:17], s[16:17]
	s_cbranch_execz .LBB34_21
; %bb.17:                               ;   in Loop: Header=BB34_14 Depth=1
	s_load_dword s7, s[12:13], 0x0
	s_mov_b64 s[34:35], -1
	s_and_b64 vcc, exec, s[28:29]
	s_waitcnt lgkmcnt(0)
	s_sub_i32 s7, s7, s20
	s_lshl_b32 s30, s7, 1
	s_cbranch_vccz .LBB34_19
; %bb.18:                               ;   in Loop: Header=BB34_14 Depth=1
	v_or_b32_e32 v9, s30, v12
	s_ashr_i32 s7, s30, 31
	v_mul_lo_u32 v11, v9, s9
	s_mul_i32 s7, s7, s8
	v_mad_u64_u32 v[22:23], s[34:35], v9, s8, 0
	v_add3_u32 v23, v23, v11, s7
	v_lshlrev_b64 v[22:23], 3, v[22:23]
	v_add_co_u32_e32 v22, vcc, v13, v22
	v_addc_co_u32_e32 v23, vcc, v14, v23, vcc
	global_load_dwordx2 v[22:23], v[22:23], off
	s_mov_b64 s[34:35], 0
	s_waitcnt vmcnt(0)
	ds_write_b64 v15, v[22:23]
.LBB34_19:                              ;   in Loop: Header=BB34_14 Depth=1
	s_andn2_b64 vcc, exec, s[34:35]
	s_cbranch_vccnz .LBB34_21
; %bb.20:                               ;   in Loop: Header=BB34_14 Depth=1
	s_ashr_i32 s31, s30, 31
	s_lshl_b64 s[30:31], s[30:31], 3
	v_mov_b32_e32 v9, s31
	v_add_co_u32_e32 v22, vcc, s30, v16
	v_addc_co_u32_e32 v23, vcc, v17, v9, vcc
	global_load_dwordx2 v[22:23], v[22:23], off
	s_waitcnt vmcnt(0)
	ds_write_b64 v15, v[22:23]
.LBB34_21:                              ;   in Loop: Header=BB34_14 Depth=1
	s_or_b64 exec, exec, s[16:17]
	s_and_saveexec_b64 s[16:17], s[26:27]
	s_cbranch_execz .LBB34_13
; %bb.22:                               ;   in Loop: Header=BB34_14 Depth=1
	v_ashrrev_i32_e32 v9, 31, v8
	v_lshlrev_b64 v[22:23], 3, v[8:9]
	v_mov_b32_e32 v9, s15
	v_add_co_u32_e32 v22, vcc, s14, v22
	v_addc_co_u32_e32 v23, vcc, v9, v23, vcc
	global_load_dwordx2 v[22:23], v[22:23], off
	s_waitcnt vmcnt(0)
	ds_write_b64 v18, v[22:23]
	s_branch .LBB34_13
.LBB34_23:
	v_pk_mov_b32 v[4:5], s[2:3], s[2:3] op_sel:[0,1]
	flat_load_dword v3, v[4:5] offset:4
	s_and_b64 vcc, exec, s[0:1]
	s_waitcnt lgkmcnt(0)
	v_mov_b32_e32 v4, s10
	s_cbranch_vccnz .LBB34_4
.LBB34_24:
	v_pk_mov_b32 v[4:5], s[10:11], s[10:11] op_sel:[0,1]
	flat_load_dword v4, v[4:5]
	s_and_b64 vcc, exec, s[0:1]
	v_mov_b32_e32 v5, s11
	s_cbranch_vccz .LBB34_5
	s_branch .LBB34_6
.LBB34_25:
	s_and_b64 s[0:1], s[2:3], s[0:1]
	s_and_b64 s[0:1], s[22:23], s[0:1]
	s_and_b64 exec, exec, s[0:1]
	s_cbranch_execz .LBB34_30
; %bb.26:
	s_load_dwordx2 s[0:1], s[4:5], 0x58
	v_lshl_add_u32 v8, s6, 2, v12
	s_waitcnt lgkmcnt(0)
	v_mul_lo_u32 v9, v1, s0
	v_mul_lo_u32 v10, v0, s1
	v_mad_u64_u32 v[0:1], s[0:1], v0, s0, 0
	v_add3_u32 v1, v1, v10, v9
	v_and_b32_e32 v9, 0x7fffffff, v4
	v_cmp_ne_u32_e32 vcc, 0, v9
	v_cmp_neq_f32_e64 s[0:1], 0, v5
	s_or_b64 s[0:1], vcc, s[0:1]
	v_ashrrev_i32_e32 v9, 31, v8
	v_lshlrev_b64 v[0:1], 3, v[0:1]
	s_and_saveexec_b64 s[2:3], s[0:1]
	s_xor_b64 s[0:1], exec, s[2:3]
	s_cbranch_execz .LBB34_28
; %bb.27:
	v_mov_b32_e32 v10, s11
	v_add_co_u32_e32 v11, vcc, s10, v0
	v_addc_co_u32_e32 v10, vcc, v10, v1, vcc
	v_lshlrev_b64 v[0:1], 3, v[8:9]
	v_add_co_u32_e32 v0, vcc, v11, v0
	v_addc_co_u32_e32 v1, vcc, v10, v1, vcc
	global_load_dwordx2 v[8:9], v[0:1], off
	v_xor_b32_e32 v10, 0x80000000, v3
	v_mov_b32_e32 v11, v2
	v_pk_mul_f32 v[10:11], v[6:7], v[10:11] op_sel:[1,0]
	v_pk_fma_f32 v[2:3], v[2:3], v[6:7], v[10:11] op_sel_hi:[1,0,1]
	v_xor_b32_e32 v12, 0x80000000, v5
	v_mov_b32_e32 v13, v4
                                        ; implicit-def: $vgpr6_vgpr7
	s_waitcnt vmcnt(0)
	v_pk_fma_f32 v[2:3], v[4:5], v[8:9], v[2:3] op_sel_hi:[1,0,1]
	v_pk_fma_f32 v[2:3], v[12:13], v[8:9], v[2:3] op_sel:[0,1,0]
	global_store_dwordx2 v[0:1], v[2:3], off
                                        ; implicit-def: $vgpr3
                                        ; implicit-def: $vgpr8
                                        ; implicit-def: $vgpr0_vgpr1
.LBB34_28:
	s_andn2_saveexec_b64 s[0:1], s[0:1]
	s_cbranch_execz .LBB34_30
; %bb.29:
	v_mov_b32_e32 v5, s11
	v_add_co_u32_e32 v10, vcc, s10, v0
	v_addc_co_u32_e32 v5, vcc, v5, v1, vcc
	v_lshlrev_b64 v[0:1], 3, v[8:9]
	v_add_co_u32_e32 v0, vcc, v10, v0
	v_xor_b32_e32 v4, 0x80000000, v3
	v_addc_co_u32_e32 v1, vcc, v5, v1, vcc
	v_mov_b32_e32 v5, v2
	v_pk_mul_f32 v[4:5], v[6:7], v[4:5] op_sel:[1,0]
	v_pk_fma_f32 v[2:3], v[2:3], v[6:7], v[4:5] op_sel_hi:[1,0,1]
	global_store_dwordx2 v[0:1], v[2:3], off
.LBB34_30:
	s_endpgm
	.section	.rodata,"a",@progbits
	.p2align	6, 0x0
	.amdhsa_kernel _ZN9rocsparseL29gebsrmm_small_blockdim_kernelILi4ELi2ELi4ELi16E21rocsparse_complex_numIfEEEv20rocsparse_direction_20rocsparse_operation_iiNS_24const_host_device_scalarIT3_EEPKiS9_PKS6_iiSB_lS7_PS6_l21rocsparse_index_base_b
		.amdhsa_group_segment_fixed_size 640
		.amdhsa_private_segment_fixed_size 0
		.amdhsa_kernarg_size 104
		.amdhsa_user_sgpr_count 6
		.amdhsa_user_sgpr_private_segment_buffer 1
		.amdhsa_user_sgpr_dispatch_ptr 0
		.amdhsa_user_sgpr_queue_ptr 0
		.amdhsa_user_sgpr_kernarg_segment_ptr 1
		.amdhsa_user_sgpr_dispatch_id 0
		.amdhsa_user_sgpr_flat_scratch_init 0
		.amdhsa_user_sgpr_kernarg_preload_length 0
		.amdhsa_user_sgpr_kernarg_preload_offset 0
		.amdhsa_user_sgpr_private_segment_size 0
		.amdhsa_uses_dynamic_stack 0
		.amdhsa_system_sgpr_private_segment_wavefront_offset 0
		.amdhsa_system_sgpr_workgroup_id_x 1
		.amdhsa_system_sgpr_workgroup_id_y 1
		.amdhsa_system_sgpr_workgroup_id_z 0
		.amdhsa_system_sgpr_workgroup_info 0
		.amdhsa_system_vgpr_workitem_id 1
		.amdhsa_next_free_vgpr 32
		.amdhsa_next_free_sgpr 36
		.amdhsa_accum_offset 32
		.amdhsa_reserve_vcc 1
		.amdhsa_reserve_flat_scratch 0
		.amdhsa_float_round_mode_32 0
		.amdhsa_float_round_mode_16_64 0
		.amdhsa_float_denorm_mode_32 3
		.amdhsa_float_denorm_mode_16_64 3
		.amdhsa_dx10_clamp 1
		.amdhsa_ieee_mode 1
		.amdhsa_fp16_overflow 0
		.amdhsa_tg_split 0
		.amdhsa_exception_fp_ieee_invalid_op 0
		.amdhsa_exception_fp_denorm_src 0
		.amdhsa_exception_fp_ieee_div_zero 0
		.amdhsa_exception_fp_ieee_overflow 0
		.amdhsa_exception_fp_ieee_underflow 0
		.amdhsa_exception_fp_ieee_inexact 0
		.amdhsa_exception_int_div_zero 0
	.end_amdhsa_kernel
	.section	.text._ZN9rocsparseL29gebsrmm_small_blockdim_kernelILi4ELi2ELi4ELi16E21rocsparse_complex_numIfEEEv20rocsparse_direction_20rocsparse_operation_iiNS_24const_host_device_scalarIT3_EEPKiS9_PKS6_iiSB_lS7_PS6_l21rocsparse_index_base_b,"axG",@progbits,_ZN9rocsparseL29gebsrmm_small_blockdim_kernelILi4ELi2ELi4ELi16E21rocsparse_complex_numIfEEEv20rocsparse_direction_20rocsparse_operation_iiNS_24const_host_device_scalarIT3_EEPKiS9_PKS6_iiSB_lS7_PS6_l21rocsparse_index_base_b,comdat
.Lfunc_end34:
	.size	_ZN9rocsparseL29gebsrmm_small_blockdim_kernelILi4ELi2ELi4ELi16E21rocsparse_complex_numIfEEEv20rocsparse_direction_20rocsparse_operation_iiNS_24const_host_device_scalarIT3_EEPKiS9_PKS6_iiSB_lS7_PS6_l21rocsparse_index_base_b, .Lfunc_end34-_ZN9rocsparseL29gebsrmm_small_blockdim_kernelILi4ELi2ELi4ELi16E21rocsparse_complex_numIfEEEv20rocsparse_direction_20rocsparse_operation_iiNS_24const_host_device_scalarIT3_EEPKiS9_PKS6_iiSB_lS7_PS6_l21rocsparse_index_base_b
                                        ; -- End function
	.section	.AMDGPU.csdata,"",@progbits
; Kernel info:
; codeLenInByte = 1316
; NumSgprs: 40
; NumVgprs: 32
; NumAgprs: 0
; TotalNumVgprs: 32
; ScratchSize: 0
; MemoryBound: 0
; FloatMode: 240
; IeeeMode: 1
; LDSByteSize: 640 bytes/workgroup (compile time only)
; SGPRBlocks: 4
; VGPRBlocks: 3
; NumSGPRsForWavesPerEU: 40
; NumVGPRsForWavesPerEU: 32
; AccumOffset: 32
; Occupancy: 8
; WaveLimiterHint : 1
; COMPUTE_PGM_RSRC2:SCRATCH_EN: 0
; COMPUTE_PGM_RSRC2:USER_SGPR: 6
; COMPUTE_PGM_RSRC2:TRAP_HANDLER: 0
; COMPUTE_PGM_RSRC2:TGID_X_EN: 1
; COMPUTE_PGM_RSRC2:TGID_Y_EN: 1
; COMPUTE_PGM_RSRC2:TGID_Z_EN: 0
; COMPUTE_PGM_RSRC2:TIDIG_COMP_CNT: 1
; COMPUTE_PGM_RSRC3_GFX90A:ACCUM_OFFSET: 7
; COMPUTE_PGM_RSRC3_GFX90A:TG_SPLIT: 0
	.section	.text._ZN9rocsparseL29gebsrmm_small_blockdim_kernelILi4ELi3ELi4ELi16E21rocsparse_complex_numIfEEEv20rocsparse_direction_20rocsparse_operation_iiNS_24const_host_device_scalarIT3_EEPKiS9_PKS6_iiSB_lS7_PS6_l21rocsparse_index_base_b,"axG",@progbits,_ZN9rocsparseL29gebsrmm_small_blockdim_kernelILi4ELi3ELi4ELi16E21rocsparse_complex_numIfEEEv20rocsparse_direction_20rocsparse_operation_iiNS_24const_host_device_scalarIT3_EEPKiS9_PKS6_iiSB_lS7_PS6_l21rocsparse_index_base_b,comdat
	.globl	_ZN9rocsparseL29gebsrmm_small_blockdim_kernelILi4ELi3ELi4ELi16E21rocsparse_complex_numIfEEEv20rocsparse_direction_20rocsparse_operation_iiNS_24const_host_device_scalarIT3_EEPKiS9_PKS6_iiSB_lS7_PS6_l21rocsparse_index_base_b ; -- Begin function _ZN9rocsparseL29gebsrmm_small_blockdim_kernelILi4ELi3ELi4ELi16E21rocsparse_complex_numIfEEEv20rocsparse_direction_20rocsparse_operation_iiNS_24const_host_device_scalarIT3_EEPKiS9_PKS6_iiSB_lS7_PS6_l21rocsparse_index_base_b
	.p2align	8
	.type	_ZN9rocsparseL29gebsrmm_small_blockdim_kernelILi4ELi3ELi4ELi16E21rocsparse_complex_numIfEEEv20rocsparse_direction_20rocsparse_operation_iiNS_24const_host_device_scalarIT3_EEPKiS9_PKS6_iiSB_lS7_PS6_l21rocsparse_index_base_b,@function
_ZN9rocsparseL29gebsrmm_small_blockdim_kernelILi4ELi3ELi4ELi16E21rocsparse_complex_numIfEEEv20rocsparse_direction_20rocsparse_operation_iiNS_24const_host_device_scalarIT3_EEPKiS9_PKS6_iiSB_lS7_PS6_l21rocsparse_index_base_b: ; @_ZN9rocsparseL29gebsrmm_small_blockdim_kernelILi4ELi3ELi4ELi16E21rocsparse_complex_numIfEEEv20rocsparse_direction_20rocsparse_operation_iiNS_24const_host_device_scalarIT3_EEPKiS9_PKS6_iiSB_lS7_PS6_l21rocsparse_index_base_b
; %bb.0:
	s_load_dwordx2 s[20:21], s[4:5], 0x60
	s_load_dwordx2 s[2:3], s[4:5], 0x10
	s_waitcnt lgkmcnt(0)
	s_bitcmp1_b32 s21, 0
	s_cselect_b64 s[0:1], -1, 0
	s_xor_b64 s[8:9], s[0:1], -1
	s_and_b64 vcc, exec, s[0:1]
	v_mov_b32_e32 v2, s2
	s_cbranch_vccnz .LBB35_2
; %bb.1:
	v_pk_mov_b32 v[2:3], s[2:3], s[2:3] op_sel:[0,1]
	flat_load_dword v2, v[2:3]
.LBB35_2:
	s_load_dwordx4 s[12:15], s[4:5], 0x40
	v_cndmask_b32_e64 v1, 0, 1, s[8:9]
	v_cmp_ne_u32_e64 s[0:1], 1, v1
	s_andn2_b64 vcc, exec, s[8:9]
	v_mov_b32_e32 v3, s3
	s_cbranch_vccz .LBB35_23
; %bb.3:
	s_and_b64 vcc, exec, s[0:1]
	s_waitcnt lgkmcnt(0)
	v_mov_b32_e32 v4, s14
	s_cbranch_vccz .LBB35_24
.LBB35_4:
	s_and_b64 vcc, exec, s[0:1]
	v_mov_b32_e32 v5, s15
	s_cbranch_vccnz .LBB35_6
.LBB35_5:
	v_pk_mov_b32 v[6:7], s[14:15], s[14:15] op_sel:[0,1]
	flat_load_dword v5, v[6:7] offset:4
.LBB35_6:
	s_waitcnt vmcnt(0)
	v_and_b32_e32 v1, 0x7fffffff, v2
	v_cmp_eq_u32_e32 vcc, 0, v1
	v_cmp_eq_f32_e64 s[0:1], 0, v3
	s_and_b64 s[8:9], vcc, s[0:1]
	s_mov_b64 s[0:1], -1
	s_and_saveexec_b64 s[2:3], s[8:9]
	s_cbranch_execz .LBB35_8
; %bb.7:
	s_waitcnt lgkmcnt(0)
	v_and_b32_e32 v1, 0x7fffffff, v5
	v_cmp_neq_f32_e32 vcc, 1.0, v4
	v_cmp_ne_u32_e64 s[0:1], 0, v1
	s_or_b64 s[0:1], vcc, s[0:1]
	s_orn2_b64 s[0:1], s[0:1], exec
.LBB35_8:
	s_or_b64 exec, exec, s[2:3]
	s_and_saveexec_b64 s[2:3], s[0:1]
	s_cbranch_execz .LBB35_30
; %bb.9:
	s_load_dwordx4 s[8:11], s[4:5], 0x0
	s_mov_b32 s24, 0
	s_mov_b32 s21, 0
	s_waitcnt lgkmcnt(0)
	s_cmp_lt_i32 s6, s10
	s_cselect_b64 s[22:23], -1, 0
	s_cmp_ge_i32 s6, s10
	s_cbranch_scc1 .LBB35_11
; %bb.10:
	s_load_dwordx2 s[2:3], s[4:5], 0x18
	s_mov_b32 s0, s7
	s_ashr_i32 s7, s6, 31
	s_lshl_b64 s[14:15], s[6:7], 2
	s_mov_b32 s7, s0
	s_waitcnt lgkmcnt(0)
	s_add_u32 s0, s2, s14
	s_addc_u32 s1, s3, s15
	s_load_dwordx2 s[0:1], s[0:1], 0x0
	s_waitcnt lgkmcnt(0)
	s_sub_i32 s24, s0, s20
	s_sub_i32 s21, s1, s20
.LBB35_11:
	s_load_dwordx2 s[14:15], s[4:5], 0x50
	v_bfe_u32 v8, v0, 10, 10
	v_and_b32_e32 v10, 0x3ff, v0
	v_lshl_add_u32 v6, s7, 4, v8
	v_mov_b32_e32 v1, 0
	v_ashrrev_i32_e32 v7, 31, v6
	v_cmp_gt_i32_e64 s[0:1], s11, v6
	v_cmp_gt_u32_e64 s[2:3], 4, v10
	s_cmp_ge_i32 s24, s21
	v_mov_b32_e32 v0, v1
	s_cbranch_scc1 .LBB35_25
; %bb.12:
	s_load_dwordx4 s[16:19], s[4:5], 0x20
	s_load_dwordx2 s[30:31], s[4:5], 0x38
	v_cmp_lt_u32_e32 vcc, 2, v10
	s_xor_b64 s[10:11], s[0:1], -1
	s_or_b64 s[10:11], vcc, s[10:11]
	v_cmp_gt_u32_e32 vcc, 3, v8
	v_lshlrev_b64 v[0:1], 3, v[6:7]
	s_and_b64 s[26:27], s[2:3], vcc
	s_waitcnt lgkmcnt(0)
	v_mov_b32_e32 v14, s31
	v_add_co_u32_e32 v11, vcc, s30, v0
	v_addc_co_u32_e32 v12, vcc, v14, v1, vcc
	v_mul_lo_u32 v13, v7, s12
	v_mul_lo_u32 v15, v6, s13
	v_mad_u64_u32 v[0:1], s[28:29], v6, s12, 0
	v_add3_u32 v1, v1, v15, v13
	s_cmpk_lg_i32 s9, 0x6f
	v_lshlrev_b64 v[0:1], 3, v[0:1]
	s_cselect_b64 s[28:29], -1, 0
	v_add_co_u32_e32 v0, vcc, s30, v0
	s_cmp_eq_u32 s8, 0
	v_addc_co_u32_e32 v1, vcc, v14, v1, vcc
	v_lshlrev_b32_e32 v17, 3, v10
	s_cselect_b64 s[8:9], -1, 0
	s_ashr_i32 s25, s24, 31
	v_lshlrev_b32_e32 v9, 2, v8
	v_add_co_u32_e32 v14, vcc, v0, v17
	v_mul_u32_u24_e32 v0, 3, v10
	s_lshl_b64 s[30:31], s[24:25], 2
	s_mul_i32 s7, s24, 12
	v_add_lshl_u32 v13, v9, v10, 3
	v_lshlrev_b32_e32 v18, 5, v8
	s_add_u32 s16, s16, s30
	v_add3_u32 v20, v0, v8, s7
	v_mov_b32_e32 v8, 0
	v_addc_co_u32_e32 v15, vcc, 0, v1, vcc
	v_add_u32_e32 v16, 0x200, v13
	v_add_u32_e32 v17, 0x200, v17
	s_addc_u32 s17, s17, s31
	v_add3_u32 v19, v10, s7, v9
	v_mov_b32_e32 v0, 0
	v_mov_b32_e32 v1, v8
	s_branch .LBB35_14
.LBB35_13:                              ;   in Loop: Header=BB35_14 Depth=1
	s_or_b64 exec, exec, s[30:31]
	s_waitcnt lgkmcnt(0)
	; wave barrier
	s_waitcnt lgkmcnt(0)
	ds_read2_b64 v[22:25], v17 offset1:4
	ds_read_b128 v[26:29], v18
	ds_read_b64 v[30:31], v18 offset:16
	ds_read_b64 v[32:33], v17 offset:64
	s_add_i32 s24, s24, 1
	s_add_u32 s16, s16, 4
	s_waitcnt lgkmcnt(2)
	v_pk_fma_f32 v[0:1], v[22:23], v[26:27], v[0:1] op_sel_hi:[1,0,1]
	v_pk_fma_f32 v[0:1], v[22:23], v[26:27], v[0:1] op_sel:[1,1,0] op_sel_hi:[0,1,1] neg_lo:[1,0,0]
	v_pk_fma_f32 v[0:1], v[24:25], v[28:29], v[0:1] op_sel_hi:[1,0,1]
	v_mov_b32_e32 v22, v29
	v_pk_fma_f32 v[0:1], v[24:25], v[22:23], v[0:1] op_sel:[1,0,0] op_sel_hi:[0,0,1] neg_lo:[1,0,0]
	s_waitcnt lgkmcnt(0)
	v_pk_fma_f32 v[0:1], v[32:33], v[30:31], v[0:1] op_sel_hi:[1,0,1]
	s_addc_u32 s17, s17, 0
	v_pk_fma_f32 v[0:1], v[32:33], v[30:31], v[0:1] op_sel:[1,1,0] op_sel_hi:[0,1,1] neg_lo:[1,0,0]
	v_add_u32_e32 v19, 12, v19
	s_cmp_ge_i32 s24, s21
	v_add_u32_e32 v20, 12, v20
	s_waitcnt lgkmcnt(0)
	; wave barrier
	s_cbranch_scc1 .LBB35_25
.LBB35_14:                              ; =>This Inner Loop Header: Depth=1
	s_and_saveexec_b64 s[30:31], s[10:11]
	s_xor_b64 s[30:31], exec, s[30:31]
	s_cbranch_execz .LBB35_16
; %bb.15:                               ;   in Loop: Header=BB35_14 Depth=1
	v_mov_b32_e32 v9, v8
	ds_write_b64 v13, v[8:9]
.LBB35_16:                              ;   in Loop: Header=BB35_14 Depth=1
	s_andn2_saveexec_b64 s[30:31], s[30:31]
	s_cbranch_execz .LBB35_21
; %bb.17:                               ;   in Loop: Header=BB35_14 Depth=1
	s_load_dword s7, s[16:17], 0x0
	s_mov_b64 s[36:37], -1
	s_and_b64 vcc, exec, s[28:29]
	s_waitcnt lgkmcnt(0)
	s_sub_i32 s7, s7, s20
	s_mul_i32 s34, s7, 3
	s_cbranch_vccz .LBB35_19
; %bb.18:                               ;   in Loop: Header=BB35_14 Depth=1
	v_add_u32_e32 v9, s34, v10
	v_ashrrev_i32_e32 v21, 31, v9
	v_mul_lo_u32 v21, v21, s12
	v_mul_lo_u32 v24, v9, s13
	v_mad_u64_u32 v[22:23], s[36:37], v9, s12, 0
	v_add3_u32 v23, v23, v24, v21
	v_lshlrev_b64 v[22:23], 3, v[22:23]
	v_add_co_u32_e32 v22, vcc, v11, v22
	v_addc_co_u32_e32 v23, vcc, v12, v23, vcc
	global_load_dwordx2 v[22:23], v[22:23], off
	s_mov_b64 s[36:37], 0
	s_waitcnt vmcnt(0)
	ds_write_b64 v13, v[22:23]
.LBB35_19:                              ;   in Loop: Header=BB35_14 Depth=1
	s_andn2_b64 vcc, exec, s[36:37]
	s_cbranch_vccnz .LBB35_21
; %bb.20:                               ;   in Loop: Header=BB35_14 Depth=1
	s_ashr_i32 s35, s34, 31
	s_lshl_b64 s[34:35], s[34:35], 3
	v_mov_b32_e32 v9, s35
	v_add_co_u32_e32 v22, vcc, s34, v14
	v_addc_co_u32_e32 v23, vcc, v15, v9, vcc
	global_load_dwordx2 v[22:23], v[22:23], off
	s_waitcnt vmcnt(0)
	ds_write_b64 v13, v[22:23]
.LBB35_21:                              ;   in Loop: Header=BB35_14 Depth=1
	s_or_b64 exec, exec, s[30:31]
	s_and_saveexec_b64 s[30:31], s[26:27]
	s_cbranch_execz .LBB35_13
; %bb.22:                               ;   in Loop: Header=BB35_14 Depth=1
	v_cndmask_b32_e64 v22, v19, v20, s[8:9]
	v_ashrrev_i32_e32 v23, 31, v22
	v_lshlrev_b64 v[22:23], 3, v[22:23]
	v_mov_b32_e32 v9, s19
	v_add_co_u32_e32 v22, vcc, s18, v22
	v_addc_co_u32_e32 v23, vcc, v9, v23, vcc
	global_load_dwordx2 v[22:23], v[22:23], off
	s_waitcnt vmcnt(0)
	ds_write_b64 v16, v[22:23]
	s_branch .LBB35_13
.LBB35_23:
	v_pk_mov_b32 v[4:5], s[2:3], s[2:3] op_sel:[0,1]
	flat_load_dword v3, v[4:5] offset:4
	s_and_b64 vcc, exec, s[0:1]
	s_waitcnt lgkmcnt(0)
	v_mov_b32_e32 v4, s14
	s_cbranch_vccnz .LBB35_4
.LBB35_24:
	v_pk_mov_b32 v[4:5], s[14:15], s[14:15] op_sel:[0,1]
	flat_load_dword v4, v[4:5]
	s_and_b64 vcc, exec, s[0:1]
	v_mov_b32_e32 v5, s15
	s_cbranch_vccz .LBB35_5
	s_branch .LBB35_6
.LBB35_25:
	s_and_b64 s[0:1], s[2:3], s[0:1]
	s_and_b64 s[0:1], s[22:23], s[0:1]
	s_and_b64 exec, exec, s[0:1]
	s_cbranch_execz .LBB35_30
; %bb.26:
	s_load_dwordx2 s[0:1], s[4:5], 0x58
	v_lshl_add_u32 v8, s6, 2, v10
	s_waitcnt lgkmcnt(0)
	v_mul_lo_u32 v9, v7, s0
	v_mul_lo_u32 v10, v6, s1
	v_mad_u64_u32 v[6:7], s[0:1], v6, s0, 0
	v_add3_u32 v7, v7, v10, v9
	v_and_b32_e32 v9, 0x7fffffff, v4
	v_cmp_ne_u32_e32 vcc, 0, v9
	v_cmp_neq_f32_e64 s[0:1], 0, v5
	s_or_b64 s[0:1], vcc, s[0:1]
	v_ashrrev_i32_e32 v9, 31, v8
	v_lshlrev_b64 v[6:7], 3, v[6:7]
	s_and_saveexec_b64 s[2:3], s[0:1]
	s_xor_b64 s[0:1], exec, s[2:3]
	s_cbranch_execz .LBB35_28
; %bb.27:
	v_mov_b32_e32 v10, s15
	v_add_co_u32_e32 v11, vcc, s14, v6
	v_addc_co_u32_e32 v10, vcc, v10, v7, vcc
	v_lshlrev_b64 v[6:7], 3, v[8:9]
	v_add_co_u32_e32 v6, vcc, v11, v6
	v_addc_co_u32_e32 v7, vcc, v10, v7, vcc
	global_load_dwordx2 v[8:9], v[6:7], off
	v_xor_b32_e32 v10, 0x80000000, v3
	v_mov_b32_e32 v11, v2
	v_pk_mul_f32 v[10:11], v[0:1], v[10:11] op_sel:[1,0]
	v_pk_fma_f32 v[0:1], v[2:3], v[0:1], v[10:11] op_sel_hi:[1,0,1]
	v_xor_b32_e32 v12, 0x80000000, v5
	v_mov_b32_e32 v13, v4
                                        ; implicit-def: $vgpr3
	s_waitcnt vmcnt(0)
	v_pk_fma_f32 v[0:1], v[4:5], v[8:9], v[0:1] op_sel_hi:[1,0,1]
	v_pk_fma_f32 v[0:1], v[12:13], v[8:9], v[0:1] op_sel:[0,1,0]
	global_store_dwordx2 v[6:7], v[0:1], off
                                        ; implicit-def: $vgpr8
                                        ; implicit-def: $vgpr6_vgpr7
                                        ; implicit-def: $vgpr0_vgpr1
.LBB35_28:
	s_andn2_saveexec_b64 s[0:1], s[0:1]
	s_cbranch_execz .LBB35_30
; %bb.29:
	v_mov_b32_e32 v5, s15
	v_add_co_u32_e32 v10, vcc, s14, v6
	v_addc_co_u32_e32 v5, vcc, v5, v7, vcc
	v_lshlrev_b64 v[6:7], 3, v[8:9]
	v_add_co_u32_e32 v6, vcc, v10, v6
	v_xor_b32_e32 v4, 0x80000000, v3
	v_addc_co_u32_e32 v7, vcc, v5, v7, vcc
	v_mov_b32_e32 v5, v2
	v_pk_mul_f32 v[4:5], v[0:1], v[4:5] op_sel:[1,0]
	v_pk_fma_f32 v[0:1], v[2:3], v[0:1], v[4:5] op_sel_hi:[1,0,1]
	global_store_dwordx2 v[6:7], v[0:1], off
.LBB35_30:
	s_endpgm
	.section	.rodata,"a",@progbits
	.p2align	6, 0x0
	.amdhsa_kernel _ZN9rocsparseL29gebsrmm_small_blockdim_kernelILi4ELi3ELi4ELi16E21rocsparse_complex_numIfEEEv20rocsparse_direction_20rocsparse_operation_iiNS_24const_host_device_scalarIT3_EEPKiS9_PKS6_iiSB_lS7_PS6_l21rocsparse_index_base_b
		.amdhsa_group_segment_fixed_size 640
		.amdhsa_private_segment_fixed_size 0
		.amdhsa_kernarg_size 104
		.amdhsa_user_sgpr_count 6
		.amdhsa_user_sgpr_private_segment_buffer 1
		.amdhsa_user_sgpr_dispatch_ptr 0
		.amdhsa_user_sgpr_queue_ptr 0
		.amdhsa_user_sgpr_kernarg_segment_ptr 1
		.amdhsa_user_sgpr_dispatch_id 0
		.amdhsa_user_sgpr_flat_scratch_init 0
		.amdhsa_user_sgpr_kernarg_preload_length 0
		.amdhsa_user_sgpr_kernarg_preload_offset 0
		.amdhsa_user_sgpr_private_segment_size 0
		.amdhsa_uses_dynamic_stack 0
		.amdhsa_system_sgpr_private_segment_wavefront_offset 0
		.amdhsa_system_sgpr_workgroup_id_x 1
		.amdhsa_system_sgpr_workgroup_id_y 1
		.amdhsa_system_sgpr_workgroup_id_z 0
		.amdhsa_system_sgpr_workgroup_info 0
		.amdhsa_system_vgpr_workitem_id 1
		.amdhsa_next_free_vgpr 34
		.amdhsa_next_free_sgpr 38
		.amdhsa_accum_offset 36
		.amdhsa_reserve_vcc 1
		.amdhsa_reserve_flat_scratch 0
		.amdhsa_float_round_mode_32 0
		.amdhsa_float_round_mode_16_64 0
		.amdhsa_float_denorm_mode_32 3
		.amdhsa_float_denorm_mode_16_64 3
		.amdhsa_dx10_clamp 1
		.amdhsa_ieee_mode 1
		.amdhsa_fp16_overflow 0
		.amdhsa_tg_split 0
		.amdhsa_exception_fp_ieee_invalid_op 0
		.amdhsa_exception_fp_denorm_src 0
		.amdhsa_exception_fp_ieee_div_zero 0
		.amdhsa_exception_fp_ieee_overflow 0
		.amdhsa_exception_fp_ieee_underflow 0
		.amdhsa_exception_fp_ieee_inexact 0
		.amdhsa_exception_int_div_zero 0
	.end_amdhsa_kernel
	.section	.text._ZN9rocsparseL29gebsrmm_small_blockdim_kernelILi4ELi3ELi4ELi16E21rocsparse_complex_numIfEEEv20rocsparse_direction_20rocsparse_operation_iiNS_24const_host_device_scalarIT3_EEPKiS9_PKS6_iiSB_lS7_PS6_l21rocsparse_index_base_b,"axG",@progbits,_ZN9rocsparseL29gebsrmm_small_blockdim_kernelILi4ELi3ELi4ELi16E21rocsparse_complex_numIfEEEv20rocsparse_direction_20rocsparse_operation_iiNS_24const_host_device_scalarIT3_EEPKiS9_PKS6_iiSB_lS7_PS6_l21rocsparse_index_base_b,comdat
.Lfunc_end35:
	.size	_ZN9rocsparseL29gebsrmm_small_blockdim_kernelILi4ELi3ELi4ELi16E21rocsparse_complex_numIfEEEv20rocsparse_direction_20rocsparse_operation_iiNS_24const_host_device_scalarIT3_EEPKiS9_PKS6_iiSB_lS7_PS6_l21rocsparse_index_base_b, .Lfunc_end35-_ZN9rocsparseL29gebsrmm_small_blockdim_kernelILi4ELi3ELi4ELi16E21rocsparse_complex_numIfEEEv20rocsparse_direction_20rocsparse_operation_iiNS_24const_host_device_scalarIT3_EEPKiS9_PKS6_iiSB_lS7_PS6_l21rocsparse_index_base_b
                                        ; -- End function
	.section	.AMDGPU.csdata,"",@progbits
; Kernel info:
; codeLenInByte = 1364
; NumSgprs: 42
; NumVgprs: 34
; NumAgprs: 0
; TotalNumVgprs: 34
; ScratchSize: 0
; MemoryBound: 0
; FloatMode: 240
; IeeeMode: 1
; LDSByteSize: 640 bytes/workgroup (compile time only)
; SGPRBlocks: 5
; VGPRBlocks: 4
; NumSGPRsForWavesPerEU: 42
; NumVGPRsForWavesPerEU: 34
; AccumOffset: 36
; Occupancy: 8
; WaveLimiterHint : 1
; COMPUTE_PGM_RSRC2:SCRATCH_EN: 0
; COMPUTE_PGM_RSRC2:USER_SGPR: 6
; COMPUTE_PGM_RSRC2:TRAP_HANDLER: 0
; COMPUTE_PGM_RSRC2:TGID_X_EN: 1
; COMPUTE_PGM_RSRC2:TGID_Y_EN: 1
; COMPUTE_PGM_RSRC2:TGID_Z_EN: 0
; COMPUTE_PGM_RSRC2:TIDIG_COMP_CNT: 1
; COMPUTE_PGM_RSRC3_GFX90A:ACCUM_OFFSET: 8
; COMPUTE_PGM_RSRC3_GFX90A:TG_SPLIT: 0
	.section	.text._ZN9rocsparseL29gebsrmm_small_blockdim_kernelILi1ELi2ELi2ELi16E21rocsparse_complex_numIdEEEv20rocsparse_direction_20rocsparse_operation_iiNS_24const_host_device_scalarIT3_EEPKiS9_PKS6_iiSB_lS7_PS6_l21rocsparse_index_base_b,"axG",@progbits,_ZN9rocsparseL29gebsrmm_small_blockdim_kernelILi1ELi2ELi2ELi16E21rocsparse_complex_numIdEEEv20rocsparse_direction_20rocsparse_operation_iiNS_24const_host_device_scalarIT3_EEPKiS9_PKS6_iiSB_lS7_PS6_l21rocsparse_index_base_b,comdat
	.globl	_ZN9rocsparseL29gebsrmm_small_blockdim_kernelILi1ELi2ELi2ELi16E21rocsparse_complex_numIdEEEv20rocsparse_direction_20rocsparse_operation_iiNS_24const_host_device_scalarIT3_EEPKiS9_PKS6_iiSB_lS7_PS6_l21rocsparse_index_base_b ; -- Begin function _ZN9rocsparseL29gebsrmm_small_blockdim_kernelILi1ELi2ELi2ELi16E21rocsparse_complex_numIdEEEv20rocsparse_direction_20rocsparse_operation_iiNS_24const_host_device_scalarIT3_EEPKiS9_PKS6_iiSB_lS7_PS6_l21rocsparse_index_base_b
	.p2align	8
	.type	_ZN9rocsparseL29gebsrmm_small_blockdim_kernelILi1ELi2ELi2ELi16E21rocsparse_complex_numIdEEEv20rocsparse_direction_20rocsparse_operation_iiNS_24const_host_device_scalarIT3_EEPKiS9_PKS6_iiSB_lS7_PS6_l21rocsparse_index_base_b,@function
_ZN9rocsparseL29gebsrmm_small_blockdim_kernelILi1ELi2ELi2ELi16E21rocsparse_complex_numIdEEEv20rocsparse_direction_20rocsparse_operation_iiNS_24const_host_device_scalarIT3_EEPKiS9_PKS6_iiSB_lS7_PS6_l21rocsparse_index_base_b: ; @_ZN9rocsparseL29gebsrmm_small_blockdim_kernelILi1ELi2ELi2ELi16E21rocsparse_complex_numIdEEEv20rocsparse_direction_20rocsparse_operation_iiNS_24const_host_device_scalarIT3_EEPKiS9_PKS6_iiSB_lS7_PS6_l21rocsparse_index_base_b
; %bb.0:
	s_load_dwordx2 s[10:11], s[6:7], 0x70
	s_load_dwordx4 s[16:19], s[6:7], 0x10
	s_load_dwordx4 s[12:15], s[6:7], 0x48
	s_mov_b64 s[2:3], src_shared_base
	s_load_dwordx2 s[4:5], s[4:5], 0x4
	s_waitcnt lgkmcnt(0)
	s_bitcmp1_b32 s11, 0
	s_cselect_b64 s[0:1], -1, 0
	s_and_b64 vcc, s[0:1], exec
	s_cselect_b32 s2, s3, s17
	s_lshr_b32 s4, s4, 16
	v_bfe_u32 v1, v0, 10, 10
	v_and_b32_e32 v20, 0x3ff, v0
	s_mul_i32 s4, s4, s5
	v_mul_u32_u24_e32 v2, s5, v1
	v_mad_u32_u24 v2, s4, v20, v2
	v_bfe_u32 v0, v0, 20, 10
	v_add_lshl_u32 v0, v2, v0, 3
	v_mov_b32_e32 v6, s16
	v_add_u32_e32 v7, 0x340, v0
	v_pk_mov_b32 v[2:3], s[16:17], s[16:17] op_sel:[0,1]
	v_pk_mov_b32 v[4:5], s[14:15], s[14:15] op_sel:[0,1]
	ds_write2_b64 v0, v[4:5], v[2:3] offset0:72 offset1:104
	v_cndmask_b32_e64 v2, v6, v7, s[0:1]
	v_mov_b32_e32 v3, s2
	flat_load_dwordx2 v[8:9], v[2:3]
	s_load_dwordx2 s[4:5], s[6:7], 0x58
	s_xor_b64 s[20:21], s[0:1], -1
	v_add_u32_e32 v0, 0x240, v0
	v_pk_mov_b32 v[10:11], s[18:19], s[18:19] op_sel:[0,1]
	s_cbranch_vccnz .LBB36_2
; %bb.1:
	v_pk_mov_b32 v[2:3], s[16:17], s[16:17] op_sel:[0,1]
	flat_load_dwordx2 v[10:11], v[2:3] offset:8
.LBB36_2:
	s_and_b64 s[16:17], s[0:1], exec
	s_cselect_b32 s2, s3, s15
	v_mov_b32_e32 v2, s14
	v_cndmask_b32_e64 v2, v2, v0, s[0:1]
	v_mov_b32_e32 v3, s2
	flat_load_dwordx2 v[4:5], v[2:3]
	s_andn2_b64 vcc, exec, s[20:21]
	s_waitcnt lgkmcnt(0)
	v_pk_mov_b32 v[6:7], s[4:5], s[4:5] op_sel:[0,1]
	s_cbranch_vccnz .LBB36_4
; %bb.3:
	v_pk_mov_b32 v[2:3], s[14:15], s[14:15] op_sel:[0,1]
	flat_load_dwordx2 v[6:7], v[2:3] offset:8
.LBB36_4:
	s_waitcnt vmcnt(0)
	v_cmp_eq_f64_e32 vcc, 0, v[8:9]
	v_cmp_eq_f64_e64 s[0:1], 0, v[10:11]
	s_and_b64 s[4:5], vcc, s[0:1]
	s_mov_b64 s[0:1], -1
	s_and_saveexec_b64 s[2:3], s[4:5]
	s_cbranch_execz .LBB36_6
; %bb.5:
	v_cmp_neq_f64_e32 vcc, 1.0, v[4:5]
	s_waitcnt lgkmcnt(0)
	v_cmp_neq_f64_e64 s[0:1], 0, v[6:7]
	s_or_b64 s[0:1], vcc, s[0:1]
	s_orn2_b64 s[0:1], s[0:1], exec
.LBB36_6:
	s_or_b64 exec, exec, s[2:3]
	s_and_saveexec_b64 s[2:3], s[0:1]
	s_cbranch_execz .LBB36_26
; %bb.7:
	s_load_dwordx4 s[20:23], s[6:7], 0x4
	s_mov_b32 s24, 0
	s_mov_b32 s11, 0
	s_waitcnt lgkmcnt(0)
	s_cmp_lt_i32 s8, s21
	s_cselect_b64 s[14:15], -1, 0
	s_cmp_ge_i32 s8, s21
	s_cbranch_scc1 .LBB36_9
; %bb.8:
	s_load_dwordx2 s[2:3], s[6:7], 0x20
	s_mov_b32 s0, s9
	s_ashr_i32 s9, s8, 31
	s_lshl_b64 s[4:5], s[8:9], 2
	s_mov_b32 s9, s0
	s_waitcnt lgkmcnt(0)
	s_add_u32 s0, s2, s4
	s_addc_u32 s1, s3, s5
	s_load_dwordx2 s[0:1], s[0:1], 0x0
	s_waitcnt lgkmcnt(0)
	s_sub_i32 s24, s0, s10
	s_sub_i32 s11, s1, s10
.LBB36_9:
	s_load_dwordx2 s[4:5], s[6:7], 0x60
	v_lshl_add_u32 v12, s9, 4, v1
	v_pk_mov_b32 v[14:15], 0, 0
	v_ashrrev_i32_e32 v13, 31, v12
	v_cmp_gt_i32_e64 s[0:1], s22, v12
	v_cmp_eq_u32_e64 s[2:3], 0, v20
	s_cmp_ge_i32 s24, s11
	v_pk_mov_b32 v[16:17], v[14:15], v[14:15] op_sel:[0,1]
	s_cbranch_scc1 .LBB36_21
; %bb.10:
	s_load_dwordx4 s[16:19], s[6:7], 0x28
	s_load_dwordx2 s[28:29], s[6:7], 0x40
	v_cmp_lt_u32_e32 vcc, 1, v20
	s_xor_b64 s[22:23], s[0:1], -1
	s_or_b64 s[22:23], vcc, s[22:23]
	v_cmp_gt_u32_e32 vcc, 2, v1
	v_lshlrev_b64 v[2:3], 4, v[12:13]
	s_and_b64 s[26:27], s[2:3], vcc
	s_waitcnt lgkmcnt(0)
	v_mov_b32_e32 v0, s29
	v_add_co_u32_e32 v21, vcc, s28, v2
	v_addc_co_u32_e32 v22, vcc, v0, v3, vcc
	v_mul_lo_u32 v14, v13, s12
	v_mul_lo_u32 v15, v12, s13
	v_mad_u64_u32 v[2:3], s[30:31], v12, s12, 0
	v_add3_u32 v3, v3, v15, v14
	s_cmpk_lg_i32 s20, 0x6f
	v_lshlrev_b64 v[2:3], 4, v[2:3]
	s_cselect_b64 s[20:21], -1, 0
	v_add_co_u32_e32 v2, vcc, s28, v2
	s_ashr_i32 s25, s24, 31
	v_lshlrev_b32_e32 v14, 1, v1
	v_addc_co_u32_e32 v0, vcc, v0, v3, vcc
	v_lshlrev_b32_e32 v3, 4, v20
	s_lshl_b64 s[28:29], s[24:25], 2
	v_add_lshl_u32 v23, v14, v20, 4
	v_add_co_u32_e32 v24, vcc, v2, v3
	s_add_u32 s16, s16, s28
	v_pk_mov_b32 v[14:15], 0, 0
	v_addc_co_u32_e32 v25, vcc, 0, v0, vcc
	v_add_u32_e32 v26, 0x200, v23
	v_or_b32_e32 v27, 0x200, v3
	v_lshlrev_b32_e32 v28, 5, v1
	s_addc_u32 s17, s17, s29
	v_lshl_add_u32 v18, s24, 1, v1
	v_mov_b32_e32 v0, 0
	v_pk_mov_b32 v[16:17], v[14:15], v[14:15] op_sel:[0,1]
	s_branch .LBB36_12
.LBB36_11:                              ;   in Loop: Header=BB36_12 Depth=1
	s_or_b64 exec, exec, s[28:29]
	s_waitcnt lgkmcnt(0)
	; wave barrier
	s_waitcnt lgkmcnt(0)
	ds_read_b128 v[30:33], v28
	ds_read_b128 v[34:37], v27
	ds_read_b128 v[38:41], v27 offset:32
	ds_read_b128 v[42:45], v28 offset:16
	s_add_i32 s24, s24, 1
	s_add_u32 s16, s16, 4
	s_waitcnt lgkmcnt(2)
	v_fmac_f64_e32 v[16:17], v[34:35], v[30:31]
	v_fmac_f64_e32 v[14:15], v[36:37], v[30:31]
	v_fma_f64 v[2:3], -v[36:37], v[32:33], v[16:17]
	v_fmac_f64_e32 v[14:15], v[34:35], v[32:33]
	s_waitcnt lgkmcnt(0)
	v_fmac_f64_e32 v[2:3], v[38:39], v[42:43]
	v_fmac_f64_e32 v[14:15], v[40:41], v[42:43]
	s_addc_u32 s17, s17, 0
	v_fma_f64 v[16:17], -v[40:41], v[44:45], v[2:3]
	v_fmac_f64_e32 v[14:15], v[38:39], v[44:45]
	s_cmp_ge_i32 s24, s11
	v_add_u32_e32 v18, 2, v18
	s_waitcnt lgkmcnt(0)
	; wave barrier
	s_cbranch_scc1 .LBB36_21
.LBB36_12:                              ; =>This Inner Loop Header: Depth=1
	s_and_saveexec_b64 s[28:29], s[22:23]
	s_xor_b64 s[28:29], exec, s[28:29]
	s_cbranch_execz .LBB36_14
; %bb.13:                               ;   in Loop: Header=BB36_12 Depth=1
	v_mov_b32_e32 v1, v0
	v_mov_b32_e32 v2, v0
	;; [unrolled: 1-line block ×3, first 2 shown]
	ds_write_b128 v23, v[0:3]
.LBB36_14:                              ;   in Loop: Header=BB36_12 Depth=1
	s_andn2_saveexec_b64 s[28:29], s[28:29]
	s_cbranch_execz .LBB36_19
; %bb.15:                               ;   in Loop: Header=BB36_12 Depth=1
	s_load_dword s9, s[16:17], 0x0
	s_mov_b64 s[34:35], -1
	s_and_b64 vcc, exec, s[20:21]
	s_waitcnt lgkmcnt(0)
	s_sub_i32 s9, s9, s10
	s_lshl_b32 s30, s9, 1
	s_cbranch_vccz .LBB36_17
; %bb.16:                               ;   in Loop: Header=BB36_12 Depth=1
	v_or_b32_e32 v1, s30, v20
	s_ashr_i32 s9, s30, 31
	v_mul_lo_u32 v19, v1, s13
	s_mul_i32 s9, s9, s12
	v_mad_u64_u32 v[2:3], s[34:35], v1, s12, 0
	v_add3_u32 v3, v3, v19, s9
	v_lshlrev_b64 v[2:3], 4, v[2:3]
	v_add_co_u32_e32 v2, vcc, v21, v2
	v_addc_co_u32_e32 v3, vcc, v22, v3, vcc
	global_load_dwordx4 v[30:33], v[2:3], off
	s_mov_b64 s[34:35], 0
	s_waitcnt vmcnt(0)
	ds_write2_b64 v23, v[30:31], v[32:33] offset1:1
.LBB36_17:                              ;   in Loop: Header=BB36_12 Depth=1
	s_andn2_b64 vcc, exec, s[34:35]
	s_cbranch_vccnz .LBB36_19
; %bb.18:                               ;   in Loop: Header=BB36_12 Depth=1
	s_ashr_i32 s31, s30, 31
	s_lshl_b64 s[30:31], s[30:31], 4
	v_mov_b32_e32 v1, s31
	v_add_co_u32_e32 v2, vcc, s30, v24
	v_addc_co_u32_e32 v3, vcc, v25, v1, vcc
	global_load_dwordx4 v[30:33], v[2:3], off
	s_waitcnt vmcnt(0)
	ds_write2_b64 v23, v[30:31], v[32:33] offset1:1
.LBB36_19:                              ;   in Loop: Header=BB36_12 Depth=1
	s_or_b64 exec, exec, s[28:29]
	s_and_saveexec_b64 s[28:29], s[26:27]
	s_cbranch_execz .LBB36_11
; %bb.20:                               ;   in Loop: Header=BB36_12 Depth=1
	v_ashrrev_i32_e32 v19, 31, v18
	v_lshlrev_b64 v[2:3], 4, v[18:19]
	v_mov_b32_e32 v1, s19
	v_add_co_u32_e32 v2, vcc, s18, v2
	v_addc_co_u32_e32 v3, vcc, v1, v3, vcc
	global_load_dwordx4 v[30:33], v[2:3], off
	s_waitcnt vmcnt(0)
	ds_write2_b64 v26, v[30:31], v[32:33] offset1:1
	s_branch .LBB36_11
.LBB36_21:
	s_and_b64 s[0:1], s[2:3], s[0:1]
	s_and_b64 s[0:1], s[14:15], s[0:1]
	s_and_b64 exec, exec, s[0:1]
	s_cbranch_execz .LBB36_26
; %bb.22:
	s_load_dwordx2 s[0:1], s[6:7], 0x68
	v_add_u32_e32 v18, s8, v20
	v_cmp_neq_f64_e32 vcc, 0, v[4:5]
	v_mul_f64 v[2:3], v[8:9], v[14:15]
	v_ashrrev_i32_e32 v19, 31, v18
	s_waitcnt lgkmcnt(0)
	v_mul_lo_u32 v0, v13, s0
	v_mul_lo_u32 v1, v12, s1
	v_mad_u64_u32 v[12:13], s[0:1], v12, s0, 0
	v_add3_u32 v13, v13, v1, v0
	v_cmp_neq_f64_e64 s[0:1], 0, v[6:7]
	v_mul_f64 v[0:1], v[14:15], -v[10:11]
	s_or_b64 s[0:1], vcc, s[0:1]
	v_lshlrev_b64 v[12:13], 4, v[12:13]
	v_fmac_f64_e32 v[0:1], v[8:9], v[16:17]
	v_fmac_f64_e32 v[2:3], v[10:11], v[16:17]
	s_and_saveexec_b64 s[2:3], s[0:1]
	s_xor_b64 s[0:1], exec, s[2:3]
	s_cbranch_execz .LBB36_24
; %bb.23:
	v_mov_b32_e32 v8, s5
	v_add_co_u32_e32 v10, vcc, s4, v12
	v_addc_co_u32_e32 v11, vcc, v8, v13, vcc
	v_lshlrev_b64 v[8:9], 4, v[18:19]
	v_add_co_u32_e32 v12, vcc, v10, v8
	v_addc_co_u32_e32 v13, vcc, v11, v9, vcc
	global_load_dwordx4 v[8:11], v[12:13], off
                                        ; implicit-def: $vgpr18
	s_waitcnt vmcnt(0)
	v_fmac_f64_e32 v[0:1], v[4:5], v[8:9]
	v_fmac_f64_e32 v[2:3], v[6:7], v[8:9]
	v_fma_f64 v[0:1], -v[6:7], v[10:11], v[0:1]
	v_fmac_f64_e32 v[2:3], v[4:5], v[10:11]
	global_store_dwordx4 v[12:13], v[0:3], off
                                        ; implicit-def: $vgpr0_vgpr1
                                        ; implicit-def: $vgpr12_vgpr13
.LBB36_24:
	s_andn2_saveexec_b64 s[0:1], s[0:1]
	s_cbranch_execz .LBB36_26
; %bb.25:
	v_mov_b32_e32 v4, s5
	v_add_co_u32_e32 v6, vcc, s4, v12
	v_addc_co_u32_e32 v7, vcc, v4, v13, vcc
	v_lshlrev_b64 v[4:5], 4, v[18:19]
	v_add_co_u32_e32 v4, vcc, v6, v4
	v_addc_co_u32_e32 v5, vcc, v7, v5, vcc
	global_store_dwordx4 v[4:5], v[0:3], off
.LBB36_26:
	s_endpgm
	.section	.rodata,"a",@progbits
	.p2align	6, 0x0
	.amdhsa_kernel _ZN9rocsparseL29gebsrmm_small_blockdim_kernelILi1ELi2ELi2ELi16E21rocsparse_complex_numIdEEEv20rocsparse_direction_20rocsparse_operation_iiNS_24const_host_device_scalarIT3_EEPKiS9_PKS6_iiSB_lS7_PS6_l21rocsparse_index_base_b
		.amdhsa_group_segment_fixed_size 1088
		.amdhsa_private_segment_fixed_size 0
		.amdhsa_kernarg_size 120
		.amdhsa_user_sgpr_count 8
		.amdhsa_user_sgpr_private_segment_buffer 1
		.amdhsa_user_sgpr_dispatch_ptr 1
		.amdhsa_user_sgpr_queue_ptr 0
		.amdhsa_user_sgpr_kernarg_segment_ptr 1
		.amdhsa_user_sgpr_dispatch_id 0
		.amdhsa_user_sgpr_flat_scratch_init 0
		.amdhsa_user_sgpr_kernarg_preload_length 0
		.amdhsa_user_sgpr_kernarg_preload_offset 0
		.amdhsa_user_sgpr_private_segment_size 0
		.amdhsa_uses_dynamic_stack 0
		.amdhsa_system_sgpr_private_segment_wavefront_offset 0
		.amdhsa_system_sgpr_workgroup_id_x 1
		.amdhsa_system_sgpr_workgroup_id_y 1
		.amdhsa_system_sgpr_workgroup_id_z 0
		.amdhsa_system_sgpr_workgroup_info 0
		.amdhsa_system_vgpr_workitem_id 2
		.amdhsa_next_free_vgpr 46
		.amdhsa_next_free_sgpr 36
		.amdhsa_accum_offset 48
		.amdhsa_reserve_vcc 1
		.amdhsa_reserve_flat_scratch 0
		.amdhsa_float_round_mode_32 0
		.amdhsa_float_round_mode_16_64 0
		.amdhsa_float_denorm_mode_32 3
		.amdhsa_float_denorm_mode_16_64 3
		.amdhsa_dx10_clamp 1
		.amdhsa_ieee_mode 1
		.amdhsa_fp16_overflow 0
		.amdhsa_tg_split 0
		.amdhsa_exception_fp_ieee_invalid_op 0
		.amdhsa_exception_fp_denorm_src 0
		.amdhsa_exception_fp_ieee_div_zero 0
		.amdhsa_exception_fp_ieee_overflow 0
		.amdhsa_exception_fp_ieee_underflow 0
		.amdhsa_exception_fp_ieee_inexact 0
		.amdhsa_exception_int_div_zero 0
	.end_amdhsa_kernel
	.section	.text._ZN9rocsparseL29gebsrmm_small_blockdim_kernelILi1ELi2ELi2ELi16E21rocsparse_complex_numIdEEEv20rocsparse_direction_20rocsparse_operation_iiNS_24const_host_device_scalarIT3_EEPKiS9_PKS6_iiSB_lS7_PS6_l21rocsparse_index_base_b,"axG",@progbits,_ZN9rocsparseL29gebsrmm_small_blockdim_kernelILi1ELi2ELi2ELi16E21rocsparse_complex_numIdEEEv20rocsparse_direction_20rocsparse_operation_iiNS_24const_host_device_scalarIT3_EEPKiS9_PKS6_iiSB_lS7_PS6_l21rocsparse_index_base_b,comdat
.Lfunc_end36:
	.size	_ZN9rocsparseL29gebsrmm_small_blockdim_kernelILi1ELi2ELi2ELi16E21rocsparse_complex_numIdEEEv20rocsparse_direction_20rocsparse_operation_iiNS_24const_host_device_scalarIT3_EEPKiS9_PKS6_iiSB_lS7_PS6_l21rocsparse_index_base_b, .Lfunc_end36-_ZN9rocsparseL29gebsrmm_small_blockdim_kernelILi1ELi2ELi2ELi16E21rocsparse_complex_numIdEEEv20rocsparse_direction_20rocsparse_operation_iiNS_24const_host_device_scalarIT3_EEPKiS9_PKS6_iiSB_lS7_PS6_l21rocsparse_index_base_b
                                        ; -- End function
	.section	.AMDGPU.csdata,"",@progbits
; Kernel info:
; codeLenInByte = 1328
; NumSgprs: 40
; NumVgprs: 46
; NumAgprs: 0
; TotalNumVgprs: 46
; ScratchSize: 0
; MemoryBound: 0
; FloatMode: 240
; IeeeMode: 1
; LDSByteSize: 1088 bytes/workgroup (compile time only)
; SGPRBlocks: 4
; VGPRBlocks: 5
; NumSGPRsForWavesPerEU: 40
; NumVGPRsForWavesPerEU: 46
; AccumOffset: 48
; Occupancy: 8
; WaveLimiterHint : 0
; COMPUTE_PGM_RSRC2:SCRATCH_EN: 0
; COMPUTE_PGM_RSRC2:USER_SGPR: 8
; COMPUTE_PGM_RSRC2:TRAP_HANDLER: 0
; COMPUTE_PGM_RSRC2:TGID_X_EN: 1
; COMPUTE_PGM_RSRC2:TGID_Y_EN: 1
; COMPUTE_PGM_RSRC2:TGID_Z_EN: 0
; COMPUTE_PGM_RSRC2:TIDIG_COMP_CNT: 2
; COMPUTE_PGM_RSRC3_GFX90A:ACCUM_OFFSET: 11
; COMPUTE_PGM_RSRC3_GFX90A:TG_SPLIT: 0
	.section	.text._ZN9rocsparseL29gebsrmm_small_blockdim_kernelILi1ELi3ELi3ELi16E21rocsparse_complex_numIdEEEv20rocsparse_direction_20rocsparse_operation_iiNS_24const_host_device_scalarIT3_EEPKiS9_PKS6_iiSB_lS7_PS6_l21rocsparse_index_base_b,"axG",@progbits,_ZN9rocsparseL29gebsrmm_small_blockdim_kernelILi1ELi3ELi3ELi16E21rocsparse_complex_numIdEEEv20rocsparse_direction_20rocsparse_operation_iiNS_24const_host_device_scalarIT3_EEPKiS9_PKS6_iiSB_lS7_PS6_l21rocsparse_index_base_b,comdat
	.globl	_ZN9rocsparseL29gebsrmm_small_blockdim_kernelILi1ELi3ELi3ELi16E21rocsparse_complex_numIdEEEv20rocsparse_direction_20rocsparse_operation_iiNS_24const_host_device_scalarIT3_EEPKiS9_PKS6_iiSB_lS7_PS6_l21rocsparse_index_base_b ; -- Begin function _ZN9rocsparseL29gebsrmm_small_blockdim_kernelILi1ELi3ELi3ELi16E21rocsparse_complex_numIdEEEv20rocsparse_direction_20rocsparse_operation_iiNS_24const_host_device_scalarIT3_EEPKiS9_PKS6_iiSB_lS7_PS6_l21rocsparse_index_base_b
	.p2align	8
	.type	_ZN9rocsparseL29gebsrmm_small_blockdim_kernelILi1ELi3ELi3ELi16E21rocsparse_complex_numIdEEEv20rocsparse_direction_20rocsparse_operation_iiNS_24const_host_device_scalarIT3_EEPKiS9_PKS6_iiSB_lS7_PS6_l21rocsparse_index_base_b,@function
_ZN9rocsparseL29gebsrmm_small_blockdim_kernelILi1ELi3ELi3ELi16E21rocsparse_complex_numIdEEEv20rocsparse_direction_20rocsparse_operation_iiNS_24const_host_device_scalarIT3_EEPKiS9_PKS6_iiSB_lS7_PS6_l21rocsparse_index_base_b: ; @_ZN9rocsparseL29gebsrmm_small_blockdim_kernelILi1ELi3ELi3ELi16E21rocsparse_complex_numIdEEEv20rocsparse_direction_20rocsparse_operation_iiNS_24const_host_device_scalarIT3_EEPKiS9_PKS6_iiSB_lS7_PS6_l21rocsparse_index_base_b
; %bb.0:
	s_load_dwordx2 s[10:11], s[6:7], 0x70
	s_load_dwordx4 s[16:19], s[6:7], 0x10
	s_load_dwordx4 s[12:15], s[6:7], 0x48
	s_mov_b64 s[2:3], src_shared_base
	s_load_dwordx2 s[4:5], s[4:5], 0x4
	s_waitcnt lgkmcnt(0)
	s_bitcmp1_b32 s11, 0
	s_cselect_b64 s[0:1], -1, 0
	s_and_b64 vcc, s[0:1], exec
	s_cselect_b32 s2, s3, s17
	s_lshr_b32 s4, s4, 16
	v_bfe_u32 v2, v0, 10, 10
	v_and_b32_e32 v20, 0x3ff, v0
	s_mul_i32 s4, s4, s5
	v_mul_u32_u24_e32 v1, s5, v2
	v_mad_u32_u24 v1, s4, v20, v1
	v_bfe_u32 v0, v0, 20, 10
	v_add_lshl_u32 v6, v1, v0, 3
	v_mov_b32_e32 v3, s16
	v_add_u32_e32 v7, 0x510, v6
	v_pk_mov_b32 v[0:1], s[16:17], s[16:17] op_sel:[0,1]
	v_pk_mov_b32 v[4:5], s[14:15], s[14:15] op_sel:[0,1]
	ds_write2_b64 v6, v[4:5], v[0:1] offset0:114 offset1:162
	v_cndmask_b32_e64 v0, v3, v7, s[0:1]
	v_mov_b32_e32 v1, s2
	flat_load_dwordx2 v[8:9], v[0:1]
	s_load_dwordx2 s[4:5], s[6:7], 0x58
	s_xor_b64 s[20:21], s[0:1], -1
	v_add_u32_e32 v0, 0x390, v6
	v_pk_mov_b32 v[10:11], s[18:19], s[18:19] op_sel:[0,1]
	s_cbranch_vccnz .LBB37_2
; %bb.1:
	v_pk_mov_b32 v[4:5], s[16:17], s[16:17] op_sel:[0,1]
	flat_load_dwordx2 v[10:11], v[4:5] offset:8
.LBB37_2:
	s_and_b64 s[16:17], s[0:1], exec
	s_cselect_b32 s2, s3, s15
	v_mov_b32_e32 v1, s14
	v_cndmask_b32_e64 v0, v1, v0, s[0:1]
	v_mov_b32_e32 v1, s2
	flat_load_dwordx2 v[4:5], v[0:1]
	s_andn2_b64 vcc, exec, s[20:21]
	s_waitcnt lgkmcnt(0)
	v_pk_mov_b32 v[6:7], s[4:5], s[4:5] op_sel:[0,1]
	s_cbranch_vccnz .LBB37_4
; %bb.3:
	v_pk_mov_b32 v[0:1], s[14:15], s[14:15] op_sel:[0,1]
	flat_load_dwordx2 v[6:7], v[0:1] offset:8
.LBB37_4:
	s_waitcnt vmcnt(0)
	v_cmp_eq_f64_e32 vcc, 0, v[8:9]
	v_cmp_eq_f64_e64 s[0:1], 0, v[10:11]
	s_and_b64 s[4:5], vcc, s[0:1]
	s_mov_b64 s[0:1], -1
	s_and_saveexec_b64 s[2:3], s[4:5]
	s_cbranch_execz .LBB37_6
; %bb.5:
	v_cmp_neq_f64_e32 vcc, 1.0, v[4:5]
	s_waitcnt lgkmcnt(0)
	v_cmp_neq_f64_e64 s[0:1], 0, v[6:7]
	s_or_b64 s[0:1], vcc, s[0:1]
	s_orn2_b64 s[0:1], s[0:1], exec
.LBB37_6:
	s_or_b64 exec, exec, s[2:3]
	s_and_saveexec_b64 s[2:3], s[0:1]
	s_cbranch_execz .LBB37_26
; %bb.7:
	s_load_dwordx4 s[20:23], s[6:7], 0x4
	s_mov_b32 s24, 0
	s_mov_b32 s11, 0
	s_waitcnt lgkmcnt(0)
	s_cmp_lt_i32 s8, s21
	s_cselect_b64 s[14:15], -1, 0
	s_cmp_ge_i32 s8, s21
	s_cbranch_scc1 .LBB37_9
; %bb.8:
	s_load_dwordx2 s[2:3], s[6:7], 0x20
	s_mov_b32 s0, s9
	s_ashr_i32 s9, s8, 31
	s_lshl_b64 s[4:5], s[8:9], 2
	s_mov_b32 s9, s0
	s_waitcnt lgkmcnt(0)
	s_add_u32 s0, s2, s4
	s_addc_u32 s1, s3, s5
	s_load_dwordx2 s[0:1], s[0:1], 0x0
	s_waitcnt lgkmcnt(0)
	s_sub_i32 s24, s0, s10
	s_sub_i32 s11, s1, s10
.LBB37_9:
	s_load_dwordx2 s[4:5], s[6:7], 0x60
	v_lshl_add_u32 v12, s9, 4, v2
	v_pk_mov_b32 v[14:15], 0, 0
	v_ashrrev_i32_e32 v13, 31, v12
	v_cmp_gt_i32_e64 s[0:1], s22, v12
	v_cmp_eq_u32_e64 s[2:3], 0, v20
	s_cmp_ge_i32 s24, s11
	v_pk_mov_b32 v[16:17], v[14:15], v[14:15] op_sel:[0,1]
	s_cbranch_scc1 .LBB37_21
; %bb.10:
	s_load_dwordx4 s[16:19], s[6:7], 0x28
	s_load_dwordx2 s[28:29], s[6:7], 0x40
	v_cmp_lt_u32_e32 vcc, 2, v20
	s_xor_b64 s[22:23], s[0:1], -1
	s_or_b64 s[22:23], vcc, s[22:23]
	v_cmp_gt_u32_e32 vcc, 3, v2
	v_lshlrev_b64 v[0:1], 4, v[12:13]
	s_and_b64 s[26:27], s[2:3], vcc
	s_waitcnt lgkmcnt(0)
	v_mov_b32_e32 v3, s29
	v_add_co_u32_e32 v21, vcc, s28, v0
	v_addc_co_u32_e32 v22, vcc, v3, v1, vcc
	v_mul_lo_u32 v14, v13, s12
	v_mul_lo_u32 v15, v12, s13
	v_mad_u64_u32 v[0:1], s[30:31], v12, s12, 0
	v_add3_u32 v1, v1, v15, v14
	s_cmpk_lg_i32 s20, 0x6f
	v_lshlrev_b64 v[0:1], 4, v[0:1]
	s_cselect_b64 s[20:21], -1, 0
	v_add_co_u32_e32 v0, vcc, s28, v0
	s_ashr_i32 s25, s24, 31
	v_mul_u32_u24_e32 v14, 3, v2
	v_addc_co_u32_e32 v1, vcc, v3, v1, vcc
	v_lshlrev_b32_e32 v3, 4, v20
	s_lshl_b64 s[28:29], s[24:25], 2
	v_add_lshl_u32 v23, v14, v20, 4
	v_add_co_u32_e32 v24, vcc, v0, v3
	v_lshlrev_b32_e32 v28, 4, v14
	s_add_u32 s16, s16, s28
	v_pk_mov_b32 v[14:15], 0, 0
	v_addc_co_u32_e32 v25, vcc, 0, v1, vcc
	v_add_u32_e32 v26, 0x300, v23
	v_add_u32_e32 v27, 0x300, v3
	s_addc_u32 s17, s17, s29
	v_mad_u64_u32 v[18:19], s[28:29], s24, 3, v[2:3]
	v_mov_b32_e32 v0, 0
	v_pk_mov_b32 v[16:17], v[14:15], v[14:15] op_sel:[0,1]
	s_branch .LBB37_12
.LBB37_11:                              ;   in Loop: Header=BB37_12 Depth=1
	s_or_b64 exec, exec, s[28:29]
	s_waitcnt lgkmcnt(0)
	; wave barrier
	s_waitcnt lgkmcnt(0)
	ds_read_b128 v[30:33], v28
	ds_read_b128 v[34:37], v27
	ds_read_b128 v[38:41], v27 offset:48
	ds_read_b128 v[42:45], v28 offset:16
	;; [unrolled: 1-line block ×4, first 2 shown]
	s_waitcnt lgkmcnt(4)
	v_fmac_f64_e32 v[16:17], v[34:35], v[30:31]
	v_fmac_f64_e32 v[14:15], v[36:37], v[30:31]
	v_fma_f64 v[2:3], -v[36:37], v[32:33], v[16:17]
	v_fmac_f64_e32 v[14:15], v[34:35], v[32:33]
	s_waitcnt lgkmcnt(2)
	v_fmac_f64_e32 v[2:3], v[38:39], v[42:43]
	v_fmac_f64_e32 v[14:15], v[40:41], v[42:43]
	s_add_i32 s24, s24, 1
	v_fma_f64 v[2:3], -v[40:41], v[44:45], v[2:3]
	v_fmac_f64_e32 v[14:15], v[38:39], v[44:45]
	s_add_u32 s16, s16, 4
	s_waitcnt lgkmcnt(0)
	v_fmac_f64_e32 v[2:3], v[50:51], v[46:47]
	v_fmac_f64_e32 v[14:15], v[52:53], v[46:47]
	s_addc_u32 s17, s17, 0
	v_fma_f64 v[16:17], -v[52:53], v[48:49], v[2:3]
	v_fmac_f64_e32 v[14:15], v[50:51], v[48:49]
	s_cmp_ge_i32 s24, s11
	v_add_u32_e32 v18, 3, v18
	s_waitcnt lgkmcnt(0)
	; wave barrier
	s_cbranch_scc1 .LBB37_21
.LBB37_12:                              ; =>This Inner Loop Header: Depth=1
	s_and_saveexec_b64 s[28:29], s[22:23]
	s_xor_b64 s[28:29], exec, s[28:29]
	s_cbranch_execz .LBB37_14
; %bb.13:                               ;   in Loop: Header=BB37_12 Depth=1
	v_mov_b32_e32 v1, v0
	v_mov_b32_e32 v2, v0
	;; [unrolled: 1-line block ×3, first 2 shown]
	ds_write_b128 v23, v[0:3]
.LBB37_14:                              ;   in Loop: Header=BB37_12 Depth=1
	s_andn2_saveexec_b64 s[28:29], s[28:29]
	s_cbranch_execz .LBB37_19
; %bb.15:                               ;   in Loop: Header=BB37_12 Depth=1
	s_load_dword s9, s[16:17], 0x0
	s_mov_b64 s[34:35], -1
	s_and_b64 vcc, exec, s[20:21]
	s_waitcnt lgkmcnt(0)
	s_sub_i32 s9, s9, s10
	s_mul_i32 s30, s9, 3
	s_cbranch_vccz .LBB37_17
; %bb.16:                               ;   in Loop: Header=BB37_12 Depth=1
	v_add_u32_e32 v1, s30, v20
	v_ashrrev_i32_e32 v2, 31, v1
	v_mul_lo_u32 v19, v2, s12
	v_mul_lo_u32 v29, v1, s13
	v_mad_u64_u32 v[2:3], s[34:35], v1, s12, 0
	v_add3_u32 v3, v3, v29, v19
	v_lshlrev_b64 v[2:3], 4, v[2:3]
	v_add_co_u32_e32 v2, vcc, v21, v2
	v_addc_co_u32_e32 v3, vcc, v22, v3, vcc
	global_load_dwordx4 v[30:33], v[2:3], off
	s_mov_b64 s[34:35], 0
	s_waitcnt vmcnt(0)
	ds_write2_b64 v23, v[30:31], v[32:33] offset1:1
.LBB37_17:                              ;   in Loop: Header=BB37_12 Depth=1
	s_andn2_b64 vcc, exec, s[34:35]
	s_cbranch_vccnz .LBB37_19
; %bb.18:                               ;   in Loop: Header=BB37_12 Depth=1
	s_ashr_i32 s31, s30, 31
	s_lshl_b64 s[30:31], s[30:31], 4
	v_mov_b32_e32 v1, s31
	v_add_co_u32_e32 v2, vcc, s30, v24
	v_addc_co_u32_e32 v3, vcc, v25, v1, vcc
	global_load_dwordx4 v[30:33], v[2:3], off
	s_waitcnt vmcnt(0)
	ds_write2_b64 v23, v[30:31], v[32:33] offset1:1
.LBB37_19:                              ;   in Loop: Header=BB37_12 Depth=1
	s_or_b64 exec, exec, s[28:29]
	s_and_saveexec_b64 s[28:29], s[26:27]
	s_cbranch_execz .LBB37_11
; %bb.20:                               ;   in Loop: Header=BB37_12 Depth=1
	v_ashrrev_i32_e32 v19, 31, v18
	v_lshlrev_b64 v[2:3], 4, v[18:19]
	v_mov_b32_e32 v1, s19
	v_add_co_u32_e32 v2, vcc, s18, v2
	v_addc_co_u32_e32 v3, vcc, v1, v3, vcc
	global_load_dwordx4 v[30:33], v[2:3], off
	s_waitcnt vmcnt(0)
	ds_write2_b64 v26, v[30:31], v[32:33] offset1:1
	s_branch .LBB37_11
.LBB37_21:
	s_and_b64 s[0:1], s[2:3], s[0:1]
	s_and_b64 s[0:1], s[14:15], s[0:1]
	s_and_b64 exec, exec, s[0:1]
	s_cbranch_execz .LBB37_26
; %bb.22:
	s_load_dwordx2 s[0:1], s[6:7], 0x68
	v_add_u32_e32 v18, s8, v20
	v_cmp_neq_f64_e32 vcc, 0, v[4:5]
	v_mul_f64 v[2:3], v[8:9], v[14:15]
	v_ashrrev_i32_e32 v19, 31, v18
	s_waitcnt lgkmcnt(0)
	v_mul_lo_u32 v0, v13, s0
	v_mul_lo_u32 v1, v12, s1
	v_mad_u64_u32 v[12:13], s[0:1], v12, s0, 0
	v_add3_u32 v13, v13, v1, v0
	v_cmp_neq_f64_e64 s[0:1], 0, v[6:7]
	v_mul_f64 v[0:1], v[14:15], -v[10:11]
	s_or_b64 s[0:1], vcc, s[0:1]
	v_lshlrev_b64 v[12:13], 4, v[12:13]
	v_fmac_f64_e32 v[0:1], v[8:9], v[16:17]
	v_fmac_f64_e32 v[2:3], v[10:11], v[16:17]
	s_and_saveexec_b64 s[2:3], s[0:1]
	s_xor_b64 s[0:1], exec, s[2:3]
	s_cbranch_execz .LBB37_24
; %bb.23:
	v_mov_b32_e32 v8, s5
	v_add_co_u32_e32 v10, vcc, s4, v12
	v_addc_co_u32_e32 v11, vcc, v8, v13, vcc
	v_lshlrev_b64 v[8:9], 4, v[18:19]
	v_add_co_u32_e32 v12, vcc, v10, v8
	v_addc_co_u32_e32 v13, vcc, v11, v9, vcc
	global_load_dwordx4 v[8:11], v[12:13], off
                                        ; implicit-def: $vgpr18
	s_waitcnt vmcnt(0)
	v_fmac_f64_e32 v[0:1], v[4:5], v[8:9]
	v_fmac_f64_e32 v[2:3], v[6:7], v[8:9]
	v_fma_f64 v[0:1], -v[6:7], v[10:11], v[0:1]
	v_fmac_f64_e32 v[2:3], v[4:5], v[10:11]
	global_store_dwordx4 v[12:13], v[0:3], off
                                        ; implicit-def: $vgpr0_vgpr1
                                        ; implicit-def: $vgpr12_vgpr13
.LBB37_24:
	s_andn2_saveexec_b64 s[0:1], s[0:1]
	s_cbranch_execz .LBB37_26
; %bb.25:
	v_mov_b32_e32 v4, s5
	v_add_co_u32_e32 v6, vcc, s4, v12
	v_addc_co_u32_e32 v7, vcc, v4, v13, vcc
	v_lshlrev_b64 v[4:5], 4, v[18:19]
	v_add_co_u32_e32 v4, vcc, v6, v4
	v_addc_co_u32_e32 v5, vcc, v7, v5, vcc
	global_store_dwordx4 v[4:5], v[0:3], off
.LBB37_26:
	s_endpgm
	.section	.rodata,"a",@progbits
	.p2align	6, 0x0
	.amdhsa_kernel _ZN9rocsparseL29gebsrmm_small_blockdim_kernelILi1ELi3ELi3ELi16E21rocsparse_complex_numIdEEEv20rocsparse_direction_20rocsparse_operation_iiNS_24const_host_device_scalarIT3_EEPKiS9_PKS6_iiSB_lS7_PS6_l21rocsparse_index_base_b
		.amdhsa_group_segment_fixed_size 1680
		.amdhsa_private_segment_fixed_size 0
		.amdhsa_kernarg_size 120
		.amdhsa_user_sgpr_count 8
		.amdhsa_user_sgpr_private_segment_buffer 1
		.amdhsa_user_sgpr_dispatch_ptr 1
		.amdhsa_user_sgpr_queue_ptr 0
		.amdhsa_user_sgpr_kernarg_segment_ptr 1
		.amdhsa_user_sgpr_dispatch_id 0
		.amdhsa_user_sgpr_flat_scratch_init 0
		.amdhsa_user_sgpr_kernarg_preload_length 0
		.amdhsa_user_sgpr_kernarg_preload_offset 0
		.amdhsa_user_sgpr_private_segment_size 0
		.amdhsa_uses_dynamic_stack 0
		.amdhsa_system_sgpr_private_segment_wavefront_offset 0
		.amdhsa_system_sgpr_workgroup_id_x 1
		.amdhsa_system_sgpr_workgroup_id_y 1
		.amdhsa_system_sgpr_workgroup_id_z 0
		.amdhsa_system_sgpr_workgroup_info 0
		.amdhsa_system_vgpr_workitem_id 2
		.amdhsa_next_free_vgpr 54
		.amdhsa_next_free_sgpr 36
		.amdhsa_accum_offset 56
		.amdhsa_reserve_vcc 1
		.amdhsa_reserve_flat_scratch 0
		.amdhsa_float_round_mode_32 0
		.amdhsa_float_round_mode_16_64 0
		.amdhsa_float_denorm_mode_32 3
		.amdhsa_float_denorm_mode_16_64 3
		.amdhsa_dx10_clamp 1
		.amdhsa_ieee_mode 1
		.amdhsa_fp16_overflow 0
		.amdhsa_tg_split 0
		.amdhsa_exception_fp_ieee_invalid_op 0
		.amdhsa_exception_fp_denorm_src 0
		.amdhsa_exception_fp_ieee_div_zero 0
		.amdhsa_exception_fp_ieee_overflow 0
		.amdhsa_exception_fp_ieee_underflow 0
		.amdhsa_exception_fp_ieee_inexact 0
		.amdhsa_exception_int_div_zero 0
	.end_amdhsa_kernel
	.section	.text._ZN9rocsparseL29gebsrmm_small_blockdim_kernelILi1ELi3ELi3ELi16E21rocsparse_complex_numIdEEEv20rocsparse_direction_20rocsparse_operation_iiNS_24const_host_device_scalarIT3_EEPKiS9_PKS6_iiSB_lS7_PS6_l21rocsparse_index_base_b,"axG",@progbits,_ZN9rocsparseL29gebsrmm_small_blockdim_kernelILi1ELi3ELi3ELi16E21rocsparse_complex_numIdEEEv20rocsparse_direction_20rocsparse_operation_iiNS_24const_host_device_scalarIT3_EEPKiS9_PKS6_iiSB_lS7_PS6_l21rocsparse_index_base_b,comdat
.Lfunc_end37:
	.size	_ZN9rocsparseL29gebsrmm_small_blockdim_kernelILi1ELi3ELi3ELi16E21rocsparse_complex_numIdEEEv20rocsparse_direction_20rocsparse_operation_iiNS_24const_host_device_scalarIT3_EEPKiS9_PKS6_iiSB_lS7_PS6_l21rocsparse_index_base_b, .Lfunc_end37-_ZN9rocsparseL29gebsrmm_small_blockdim_kernelILi1ELi3ELi3ELi16E21rocsparse_complex_numIdEEEv20rocsparse_direction_20rocsparse_operation_iiNS_24const_host_device_scalarIT3_EEPKiS9_PKS6_iiSB_lS7_PS6_l21rocsparse_index_base_b
                                        ; -- End function
	.section	.AMDGPU.csdata,"",@progbits
; Kernel info:
; codeLenInByte = 1372
; NumSgprs: 40
; NumVgprs: 54
; NumAgprs: 0
; TotalNumVgprs: 54
; ScratchSize: 0
; MemoryBound: 0
; FloatMode: 240
; IeeeMode: 1
; LDSByteSize: 1680 bytes/workgroup (compile time only)
; SGPRBlocks: 4
; VGPRBlocks: 6
; NumSGPRsForWavesPerEU: 40
; NumVGPRsForWavesPerEU: 54
; AccumOffset: 56
; Occupancy: 8
; WaveLimiterHint : 0
; COMPUTE_PGM_RSRC2:SCRATCH_EN: 0
; COMPUTE_PGM_RSRC2:USER_SGPR: 8
; COMPUTE_PGM_RSRC2:TRAP_HANDLER: 0
; COMPUTE_PGM_RSRC2:TGID_X_EN: 1
; COMPUTE_PGM_RSRC2:TGID_Y_EN: 1
; COMPUTE_PGM_RSRC2:TGID_Z_EN: 0
; COMPUTE_PGM_RSRC2:TIDIG_COMP_CNT: 2
; COMPUTE_PGM_RSRC3_GFX90A:ACCUM_OFFSET: 13
; COMPUTE_PGM_RSRC3_GFX90A:TG_SPLIT: 0
	.section	.text._ZN9rocsparseL29gebsrmm_small_blockdim_kernelILi1ELi4ELi4ELi16E21rocsparse_complex_numIdEEEv20rocsparse_direction_20rocsparse_operation_iiNS_24const_host_device_scalarIT3_EEPKiS9_PKS6_iiSB_lS7_PS6_l21rocsparse_index_base_b,"axG",@progbits,_ZN9rocsparseL29gebsrmm_small_blockdim_kernelILi1ELi4ELi4ELi16E21rocsparse_complex_numIdEEEv20rocsparse_direction_20rocsparse_operation_iiNS_24const_host_device_scalarIT3_EEPKiS9_PKS6_iiSB_lS7_PS6_l21rocsparse_index_base_b,comdat
	.globl	_ZN9rocsparseL29gebsrmm_small_blockdim_kernelILi1ELi4ELi4ELi16E21rocsparse_complex_numIdEEEv20rocsparse_direction_20rocsparse_operation_iiNS_24const_host_device_scalarIT3_EEPKiS9_PKS6_iiSB_lS7_PS6_l21rocsparse_index_base_b ; -- Begin function _ZN9rocsparseL29gebsrmm_small_blockdim_kernelILi1ELi4ELi4ELi16E21rocsparse_complex_numIdEEEv20rocsparse_direction_20rocsparse_operation_iiNS_24const_host_device_scalarIT3_EEPKiS9_PKS6_iiSB_lS7_PS6_l21rocsparse_index_base_b
	.p2align	8
	.type	_ZN9rocsparseL29gebsrmm_small_blockdim_kernelILi1ELi4ELi4ELi16E21rocsparse_complex_numIdEEEv20rocsparse_direction_20rocsparse_operation_iiNS_24const_host_device_scalarIT3_EEPKiS9_PKS6_iiSB_lS7_PS6_l21rocsparse_index_base_b,@function
_ZN9rocsparseL29gebsrmm_small_blockdim_kernelILi1ELi4ELi4ELi16E21rocsparse_complex_numIdEEEv20rocsparse_direction_20rocsparse_operation_iiNS_24const_host_device_scalarIT3_EEPKiS9_PKS6_iiSB_lS7_PS6_l21rocsparse_index_base_b: ; @_ZN9rocsparseL29gebsrmm_small_blockdim_kernelILi1ELi4ELi4ELi16E21rocsparse_complex_numIdEEEv20rocsparse_direction_20rocsparse_operation_iiNS_24const_host_device_scalarIT3_EEPKiS9_PKS6_iiSB_lS7_PS6_l21rocsparse_index_base_b
; %bb.0:
	s_add_u32 flat_scratch_lo, s8, s12
	s_addc_u32 flat_scratch_hi, s9, 0
	s_add_u32 s0, s0, s12
	s_load_dwordx2 s[24:25], s[6:7], 0x70
	s_load_dwordx4 s[16:19], s[6:7], 0x10
	s_load_dwordx4 s[12:15], s[6:7], 0x48
	s_load_dwordx2 s[20:21], s[4:5], 0x4
	s_addc_u32 s1, s1, 0
	s_waitcnt lgkmcnt(0)
	s_bitcmp1_b32 s25, 0
	s_cselect_b64 s[4:5], -1, 0
	s_mov_b64 s[8:9], src_shared_base
	s_and_b64 vcc, s[4:5], exec
	s_cselect_b32 s8, s9, s17
	s_lshr_b32 s9, s20, 16
	v_bfe_u32 v1, v0, 10, 10
	v_and_b32_e32 v20, 0x3ff, v0
	s_mul_i32 s9, s9, s21
	v_mul_u32_u24_e32 v2, s21, v1
	v_mad_u32_u24 v2, s9, v20, v2
	v_bfe_u32 v0, v0, 20, 10
	v_add_lshl_u32 v0, v2, v0, 3
	v_pk_mov_b32 v[2:3], s[16:17], s[16:17] op_sel:[0,1]
	v_add_u32_e32 v5, 0x500, v0
	ds_write_b64 v0, v[2:3] offset:1280
	v_mov_b32_e32 v0, s14
	v_mov_b32_e32 v4, s16
	buffer_store_dword v0, off, s[0:3], 0
	v_mov_b32_e32 v0, s15
	buffer_store_dword v0, off, s[0:3], 0 offset:4
	v_cndmask_b32_e64 v2, v4, v5, s[4:5]
	v_mov_b32_e32 v3, s8
	flat_load_dwordx2 v[8:9], v[2:3]
	s_load_dwordx2 s[8:9], s[6:7], 0x58
	s_xor_b64 s[20:21], s[4:5], -1
	v_pk_mov_b32 v[10:11], s[18:19], s[18:19] op_sel:[0,1]
	s_cbranch_vccnz .LBB38_2
; %bb.1:
	v_pk_mov_b32 v[2:3], s[16:17], s[16:17] op_sel:[0,1]
	flat_load_dwordx2 v[10:11], v[2:3] offset:8
.LBB38_2:
	s_mov_b64 s[16:17], src_private_base
	s_and_b64 s[18:19], s[4:5], exec
	s_cselect_b32 s16, s17, s15
	v_mov_b32_e32 v0, 0
	v_mov_b32_e32 v2, s14
	v_cndmask_b32_e64 v2, v2, v0, s[4:5]
	v_mov_b32_e32 v3, s16
	flat_load_dwordx2 v[4:5], v[2:3]
	s_andn2_b64 vcc, exec, s[20:21]
	s_waitcnt lgkmcnt(0)
	v_pk_mov_b32 v[6:7], s[8:9], s[8:9] op_sel:[0,1]
	s_cbranch_vccnz .LBB38_4
; %bb.3:
	v_pk_mov_b32 v[2:3], s[14:15], s[14:15] op_sel:[0,1]
	flat_load_dwordx2 v[6:7], v[2:3] offset:8
.LBB38_4:
	s_waitcnt vmcnt(0)
	v_cmp_eq_f64_e32 vcc, 0, v[8:9]
	v_cmp_eq_f64_e64 s[4:5], 0, v[10:11]
	s_and_b64 s[14:15], vcc, s[4:5]
	s_mov_b64 s[4:5], -1
	s_and_saveexec_b64 s[8:9], s[14:15]
	s_cbranch_execz .LBB38_6
; %bb.5:
	v_cmp_neq_f64_e32 vcc, 1.0, v[4:5]
	s_waitcnt lgkmcnt(0)
	v_cmp_neq_f64_e64 s[4:5], 0, v[6:7]
	s_or_b64 s[4:5], vcc, s[4:5]
	s_orn2_b64 s[4:5], s[4:5], exec
.LBB38_6:
	s_or_b64 exec, exec, s[8:9]
	s_and_saveexec_b64 s[8:9], s[4:5]
	s_cbranch_execz .LBB38_26
; %bb.7:
	s_load_dwordx4 s[20:23], s[6:7], 0x4
	s_mov_b32 s28, 0
	s_mov_b32 s25, 0
	s_waitcnt lgkmcnt(0)
	s_cmp_lt_i32 s10, s21
	s_cselect_b64 s[26:27], -1, 0
	s_cmp_ge_i32 s10, s21
	s_cbranch_scc1 .LBB38_9
; %bb.8:
	s_load_dwordx2 s[8:9], s[6:7], 0x20
	s_mov_b32 s4, s11
	s_ashr_i32 s11, s10, 31
	s_lshl_b64 s[14:15], s[10:11], 2
	s_mov_b32 s11, s4
	s_waitcnt lgkmcnt(0)
	s_add_u32 s4, s8, s14
	s_addc_u32 s5, s9, s15
	s_load_dwordx2 s[4:5], s[4:5], 0x0
	s_waitcnt lgkmcnt(0)
	s_sub_i32 s28, s4, s24
	s_sub_i32 s25, s5, s24
.LBB38_9:
	s_load_dwordx2 s[14:15], s[6:7], 0x60
	v_lshl_add_u32 v12, s11, 4, v1
	v_pk_mov_b32 v[14:15], 0, 0
	v_ashrrev_i32_e32 v13, 31, v12
	v_cmp_gt_i32_e64 s[4:5], s22, v12
	v_cmp_eq_u32_e64 s[8:9], 0, v20
	s_cmp_ge_i32 s28, s25
	v_pk_mov_b32 v[18:19], v[14:15], v[14:15] op_sel:[0,1]
	s_cbranch_scc1 .LBB38_21
; %bb.10:
	s_load_dwordx4 s[16:19], s[6:7], 0x28
	s_load_dwordx2 s[34:35], s[6:7], 0x40
	v_cmp_lt_u32_e32 vcc, 3, v20
	s_xor_b64 s[22:23], s[4:5], -1
	s_or_b64 s[22:23], vcc, s[22:23]
	v_cmp_gt_u32_e32 vcc, 4, v1
	v_lshlrev_b64 v[2:3], 4, v[12:13]
	s_and_b64 s[30:31], s[8:9], vcc
	s_waitcnt lgkmcnt(0)
	v_mov_b32_e32 v0, s35
	v_add_co_u32_e32 v21, vcc, s34, v2
	v_addc_co_u32_e32 v22, vcc, v0, v3, vcc
	v_mul_lo_u32 v14, v13, s12
	v_mul_lo_u32 v15, v12, s13
	v_mad_u64_u32 v[2:3], s[36:37], v12, s12, 0
	v_add3_u32 v3, v3, v15, v14
	s_cmpk_lg_i32 s20, 0x6f
	v_lshlrev_b64 v[2:3], 4, v[2:3]
	s_cselect_b64 s[20:21], -1, 0
	v_add_co_u32_e32 v2, vcc, s34, v2
	s_ashr_i32 s29, s28, 31
	v_lshlrev_b32_e32 v14, 2, v1
	v_addc_co_u32_e32 v0, vcc, v0, v3, vcc
	v_lshlrev_b32_e32 v3, 4, v20
	s_lshl_b64 s[34:35], s[28:29], 2
	v_add_lshl_u32 v23, v14, v20, 4
	v_add_co_u32_e32 v24, vcc, v2, v3
	s_add_u32 s16, s16, s34
	v_pk_mov_b32 v[14:15], 0, 0
	v_addc_co_u32_e32 v25, vcc, 0, v0, vcc
	v_add_u32_e32 v26, 0x400, v23
	v_or_b32_e32 v27, 0x400, v3
	v_lshlrev_b32_e32 v28, 6, v1
	s_addc_u32 s17, s17, s35
	v_lshl_add_u32 v16, s28, 2, v1
	v_mov_b32_e32 v0, 0
	v_pk_mov_b32 v[18:19], v[14:15], v[14:15] op_sel:[0,1]
	s_branch .LBB38_12
.LBB38_11:                              ;   in Loop: Header=BB38_12 Depth=1
	s_or_b64 exec, exec, s[34:35]
	s_waitcnt lgkmcnt(0)
	; wave barrier
	s_waitcnt lgkmcnt(0)
	ds_read_b128 v[30:33], v27
	ds_read_b128 v[34:37], v28
	ds_read_b128 v[38:41], v28 offset:16
	ds_read_b128 v[42:45], v28 offset:32
	;; [unrolled: 1-line block ×4, first 2 shown]
	s_waitcnt lgkmcnt(4)
	v_fmac_f64_e32 v[18:19], v[30:31], v[34:35]
	v_fmac_f64_e32 v[14:15], v[32:33], v[34:35]
	v_fma_f64 v[2:3], -v[32:33], v[36:37], v[18:19]
	v_fmac_f64_e32 v[14:15], v[30:31], v[36:37]
	ds_read_b128 v[30:33], v27 offset:128
	ds_read_b128 v[34:37], v27 offset:192
	s_waitcnt lgkmcnt(2)
	v_fmac_f64_e32 v[2:3], v[50:51], v[38:39]
	v_fmac_f64_e32 v[14:15], v[52:53], v[38:39]
	v_fma_f64 v[2:3], -v[52:53], v[40:41], v[2:3]
	v_fmac_f64_e32 v[14:15], v[50:51], v[40:41]
	s_waitcnt lgkmcnt(1)
	v_fmac_f64_e32 v[2:3], v[30:31], v[42:43]
	v_fmac_f64_e32 v[14:15], v[32:33], v[42:43]
	s_add_i32 s28, s28, 1
	v_fma_f64 v[2:3], -v[32:33], v[44:45], v[2:3]
	v_fmac_f64_e32 v[14:15], v[30:31], v[44:45]
	s_add_u32 s16, s16, 4
	s_waitcnt lgkmcnt(0)
	v_fmac_f64_e32 v[2:3], v[34:35], v[46:47]
	v_fmac_f64_e32 v[14:15], v[36:37], v[46:47]
	s_addc_u32 s17, s17, 0
	v_fma_f64 v[18:19], -v[36:37], v[48:49], v[2:3]
	v_fmac_f64_e32 v[14:15], v[34:35], v[48:49]
	s_cmp_ge_i32 s28, s25
	v_add_u32_e32 v16, 4, v16
	s_waitcnt lgkmcnt(0)
	; wave barrier
	s_cbranch_scc1 .LBB38_21
.LBB38_12:                              ; =>This Inner Loop Header: Depth=1
	s_and_saveexec_b64 s[34:35], s[22:23]
	s_xor_b64 s[34:35], exec, s[34:35]
	s_cbranch_execz .LBB38_14
; %bb.13:                               ;   in Loop: Header=BB38_12 Depth=1
	v_mov_b32_e32 v1, v0
	v_mov_b32_e32 v2, v0
	;; [unrolled: 1-line block ×3, first 2 shown]
	ds_write_b128 v23, v[0:3]
.LBB38_14:                              ;   in Loop: Header=BB38_12 Depth=1
	s_andn2_saveexec_b64 s[34:35], s[34:35]
	s_cbranch_execz .LBB38_19
; %bb.15:                               ;   in Loop: Header=BB38_12 Depth=1
	s_load_dword s11, s[16:17], 0x0
	s_mov_b64 s[38:39], -1
	s_and_b64 vcc, exec, s[20:21]
	s_waitcnt lgkmcnt(0)
	s_sub_i32 s11, s11, s24
	s_lshl_b32 s36, s11, 2
	s_cbranch_vccz .LBB38_17
; %bb.16:                               ;   in Loop: Header=BB38_12 Depth=1
	v_or_b32_e32 v1, s36, v20
	s_ashr_i32 s11, s36, 31
	v_mul_lo_u32 v17, v1, s13
	s_mul_i32 s11, s11, s12
	v_mad_u64_u32 v[2:3], s[38:39], v1, s12, 0
	v_add3_u32 v3, v3, v17, s11
	v_lshlrev_b64 v[2:3], 4, v[2:3]
	v_add_co_u32_e32 v2, vcc, v21, v2
	v_addc_co_u32_e32 v3, vcc, v22, v3, vcc
	global_load_dwordx4 v[30:33], v[2:3], off
	s_mov_b64 s[38:39], 0
	s_waitcnt vmcnt(0)
	ds_write2_b64 v23, v[30:31], v[32:33] offset1:1
.LBB38_17:                              ;   in Loop: Header=BB38_12 Depth=1
	s_andn2_b64 vcc, exec, s[38:39]
	s_cbranch_vccnz .LBB38_19
; %bb.18:                               ;   in Loop: Header=BB38_12 Depth=1
	s_ashr_i32 s37, s36, 31
	s_lshl_b64 s[36:37], s[36:37], 4
	v_mov_b32_e32 v1, s37
	v_add_co_u32_e32 v2, vcc, s36, v24
	v_addc_co_u32_e32 v3, vcc, v25, v1, vcc
	global_load_dwordx4 v[30:33], v[2:3], off
	s_waitcnt vmcnt(0)
	ds_write2_b64 v23, v[30:31], v[32:33] offset1:1
.LBB38_19:                              ;   in Loop: Header=BB38_12 Depth=1
	s_or_b64 exec, exec, s[34:35]
	s_and_saveexec_b64 s[34:35], s[30:31]
	s_cbranch_execz .LBB38_11
; %bb.20:                               ;   in Loop: Header=BB38_12 Depth=1
	v_ashrrev_i32_e32 v17, 31, v16
	v_lshlrev_b64 v[2:3], 4, v[16:17]
	v_mov_b32_e32 v1, s19
	v_add_co_u32_e32 v2, vcc, s18, v2
	v_addc_co_u32_e32 v3, vcc, v1, v3, vcc
	global_load_dwordx4 v[30:33], v[2:3], off
	s_waitcnt vmcnt(0)
	ds_write2_b64 v26, v[30:31], v[32:33] offset1:1
	s_branch .LBB38_11
.LBB38_21:
	s_and_b64 s[4:5], s[8:9], s[4:5]
	s_and_b64 s[4:5], s[26:27], s[4:5]
	s_and_b64 exec, exec, s[4:5]
	s_cbranch_execz .LBB38_26
; %bb.22:
	s_load_dwordx2 s[4:5], s[6:7], 0x68
	v_add_u32_e32 v16, s10, v20
	v_cmp_neq_f64_e32 vcc, 0, v[4:5]
	v_mul_f64 v[2:3], v[8:9], v[14:15]
	v_ashrrev_i32_e32 v17, 31, v16
	s_waitcnt lgkmcnt(0)
	v_mul_lo_u32 v0, v13, s4
	v_mul_lo_u32 v1, v12, s5
	v_mad_u64_u32 v[12:13], s[4:5], v12, s4, 0
	v_add3_u32 v13, v13, v1, v0
	v_cmp_neq_f64_e64 s[4:5], 0, v[6:7]
	v_mul_f64 v[0:1], v[14:15], -v[10:11]
	s_or_b64 s[4:5], vcc, s[4:5]
	v_lshlrev_b64 v[12:13], 4, v[12:13]
	v_fmac_f64_e32 v[0:1], v[8:9], v[18:19]
	v_fmac_f64_e32 v[2:3], v[10:11], v[18:19]
	s_and_saveexec_b64 s[6:7], s[4:5]
	s_xor_b64 s[4:5], exec, s[6:7]
	s_cbranch_execz .LBB38_24
; %bb.23:
	v_mov_b32_e32 v8, s15
	v_add_co_u32_e32 v10, vcc, s14, v12
	v_addc_co_u32_e32 v11, vcc, v8, v13, vcc
	v_lshlrev_b64 v[8:9], 4, v[16:17]
	v_add_co_u32_e32 v12, vcc, v10, v8
	v_addc_co_u32_e32 v13, vcc, v11, v9, vcc
	global_load_dwordx4 v[8:11], v[12:13], off
                                        ; implicit-def: $vgpr16
	s_waitcnt vmcnt(0)
	v_fmac_f64_e32 v[0:1], v[4:5], v[8:9]
	v_fmac_f64_e32 v[2:3], v[6:7], v[8:9]
	v_fma_f64 v[0:1], -v[6:7], v[10:11], v[0:1]
	v_fmac_f64_e32 v[2:3], v[4:5], v[10:11]
	global_store_dwordx4 v[12:13], v[0:3], off
                                        ; implicit-def: $vgpr0_vgpr1
                                        ; implicit-def: $vgpr12_vgpr13
.LBB38_24:
	s_andn2_saveexec_b64 s[4:5], s[4:5]
	s_cbranch_execz .LBB38_26
; %bb.25:
	v_mov_b32_e32 v4, s15
	v_add_co_u32_e32 v6, vcc, s14, v12
	v_addc_co_u32_e32 v7, vcc, v4, v13, vcc
	v_lshlrev_b64 v[4:5], 4, v[16:17]
	v_add_co_u32_e32 v4, vcc, v6, v4
	v_addc_co_u32_e32 v5, vcc, v7, v5, vcc
	global_store_dwordx4 v[4:5], v[0:3], off
.LBB38_26:
	s_endpgm
	.section	.rodata,"a",@progbits
	.p2align	6, 0x0
	.amdhsa_kernel _ZN9rocsparseL29gebsrmm_small_blockdim_kernelILi1ELi4ELi4ELi16E21rocsparse_complex_numIdEEEv20rocsparse_direction_20rocsparse_operation_iiNS_24const_host_device_scalarIT3_EEPKiS9_PKS6_iiSB_lS7_PS6_l21rocsparse_index_base_b
		.amdhsa_group_segment_fixed_size 1792
		.amdhsa_private_segment_fixed_size 16
		.amdhsa_kernarg_size 120
		.amdhsa_user_sgpr_count 10
		.amdhsa_user_sgpr_private_segment_buffer 1
		.amdhsa_user_sgpr_dispatch_ptr 1
		.amdhsa_user_sgpr_queue_ptr 0
		.amdhsa_user_sgpr_kernarg_segment_ptr 1
		.amdhsa_user_sgpr_dispatch_id 0
		.amdhsa_user_sgpr_flat_scratch_init 1
		.amdhsa_user_sgpr_kernarg_preload_length 0
		.amdhsa_user_sgpr_kernarg_preload_offset 0
		.amdhsa_user_sgpr_private_segment_size 0
		.amdhsa_uses_dynamic_stack 0
		.amdhsa_system_sgpr_private_segment_wavefront_offset 1
		.amdhsa_system_sgpr_workgroup_id_x 1
		.amdhsa_system_sgpr_workgroup_id_y 1
		.amdhsa_system_sgpr_workgroup_id_z 0
		.amdhsa_system_sgpr_workgroup_info 0
		.amdhsa_system_vgpr_workitem_id 2
		.amdhsa_next_free_vgpr 54
		.amdhsa_next_free_sgpr 40
		.amdhsa_accum_offset 56
		.amdhsa_reserve_vcc 1
		.amdhsa_reserve_flat_scratch 1
		.amdhsa_float_round_mode_32 0
		.amdhsa_float_round_mode_16_64 0
		.amdhsa_float_denorm_mode_32 3
		.amdhsa_float_denorm_mode_16_64 3
		.amdhsa_dx10_clamp 1
		.amdhsa_ieee_mode 1
		.amdhsa_fp16_overflow 0
		.amdhsa_tg_split 0
		.amdhsa_exception_fp_ieee_invalid_op 0
		.amdhsa_exception_fp_denorm_src 0
		.amdhsa_exception_fp_ieee_div_zero 0
		.amdhsa_exception_fp_ieee_overflow 0
		.amdhsa_exception_fp_ieee_underflow 0
		.amdhsa_exception_fp_ieee_inexact 0
		.amdhsa_exception_int_div_zero 0
	.end_amdhsa_kernel
	.section	.text._ZN9rocsparseL29gebsrmm_small_blockdim_kernelILi1ELi4ELi4ELi16E21rocsparse_complex_numIdEEEv20rocsparse_direction_20rocsparse_operation_iiNS_24const_host_device_scalarIT3_EEPKiS9_PKS6_iiSB_lS7_PS6_l21rocsparse_index_base_b,"axG",@progbits,_ZN9rocsparseL29gebsrmm_small_blockdim_kernelILi1ELi4ELi4ELi16E21rocsparse_complex_numIdEEEv20rocsparse_direction_20rocsparse_operation_iiNS_24const_host_device_scalarIT3_EEPKiS9_PKS6_iiSB_lS7_PS6_l21rocsparse_index_base_b,comdat
.Lfunc_end38:
	.size	_ZN9rocsparseL29gebsrmm_small_blockdim_kernelILi1ELi4ELi4ELi16E21rocsparse_complex_numIdEEEv20rocsparse_direction_20rocsparse_operation_iiNS_24const_host_device_scalarIT3_EEPKiS9_PKS6_iiSB_lS7_PS6_l21rocsparse_index_base_b, .Lfunc_end38-_ZN9rocsparseL29gebsrmm_small_blockdim_kernelILi1ELi4ELi4ELi16E21rocsparse_complex_numIdEEEv20rocsparse_direction_20rocsparse_operation_iiNS_24const_host_device_scalarIT3_EEPKiS9_PKS6_iiSB_lS7_PS6_l21rocsparse_index_base_b
                                        ; -- End function
	.section	.AMDGPU.csdata,"",@progbits
; Kernel info:
; codeLenInByte = 1440
; NumSgprs: 46
; NumVgprs: 54
; NumAgprs: 0
; TotalNumVgprs: 54
; ScratchSize: 16
; MemoryBound: 0
; FloatMode: 240
; IeeeMode: 1
; LDSByteSize: 1792 bytes/workgroup (compile time only)
; SGPRBlocks: 5
; VGPRBlocks: 6
; NumSGPRsForWavesPerEU: 46
; NumVGPRsForWavesPerEU: 54
; AccumOffset: 56
; Occupancy: 8
; WaveLimiterHint : 0
; COMPUTE_PGM_RSRC2:SCRATCH_EN: 1
; COMPUTE_PGM_RSRC2:USER_SGPR: 10
; COMPUTE_PGM_RSRC2:TRAP_HANDLER: 0
; COMPUTE_PGM_RSRC2:TGID_X_EN: 1
; COMPUTE_PGM_RSRC2:TGID_Y_EN: 1
; COMPUTE_PGM_RSRC2:TGID_Z_EN: 0
; COMPUTE_PGM_RSRC2:TIDIG_COMP_CNT: 2
; COMPUTE_PGM_RSRC3_GFX90A:ACCUM_OFFSET: 13
; COMPUTE_PGM_RSRC3_GFX90A:TG_SPLIT: 0
	.section	.text._ZN9rocsparseL29gebsrmm_small_blockdim_kernelILi2ELi1ELi2ELi16E21rocsparse_complex_numIdEEEv20rocsparse_direction_20rocsparse_operation_iiNS_24const_host_device_scalarIT3_EEPKiS9_PKS6_iiSB_lS7_PS6_l21rocsparse_index_base_b,"axG",@progbits,_ZN9rocsparseL29gebsrmm_small_blockdim_kernelILi2ELi1ELi2ELi16E21rocsparse_complex_numIdEEEv20rocsparse_direction_20rocsparse_operation_iiNS_24const_host_device_scalarIT3_EEPKiS9_PKS6_iiSB_lS7_PS6_l21rocsparse_index_base_b,comdat
	.globl	_ZN9rocsparseL29gebsrmm_small_blockdim_kernelILi2ELi1ELi2ELi16E21rocsparse_complex_numIdEEEv20rocsparse_direction_20rocsparse_operation_iiNS_24const_host_device_scalarIT3_EEPKiS9_PKS6_iiSB_lS7_PS6_l21rocsparse_index_base_b ; -- Begin function _ZN9rocsparseL29gebsrmm_small_blockdim_kernelILi2ELi1ELi2ELi16E21rocsparse_complex_numIdEEEv20rocsparse_direction_20rocsparse_operation_iiNS_24const_host_device_scalarIT3_EEPKiS9_PKS6_iiSB_lS7_PS6_l21rocsparse_index_base_b
	.p2align	8
	.type	_ZN9rocsparseL29gebsrmm_small_blockdim_kernelILi2ELi1ELi2ELi16E21rocsparse_complex_numIdEEEv20rocsparse_direction_20rocsparse_operation_iiNS_24const_host_device_scalarIT3_EEPKiS9_PKS6_iiSB_lS7_PS6_l21rocsparse_index_base_b,@function
_ZN9rocsparseL29gebsrmm_small_blockdim_kernelILi2ELi1ELi2ELi16E21rocsparse_complex_numIdEEEv20rocsparse_direction_20rocsparse_operation_iiNS_24const_host_device_scalarIT3_EEPKiS9_PKS6_iiSB_lS7_PS6_l21rocsparse_index_base_b: ; @_ZN9rocsparseL29gebsrmm_small_blockdim_kernelILi2ELi1ELi2ELi16E21rocsparse_complex_numIdEEEv20rocsparse_direction_20rocsparse_operation_iiNS_24const_host_device_scalarIT3_EEPKiS9_PKS6_iiSB_lS7_PS6_l21rocsparse_index_base_b
; %bb.0:
	s_load_dwordx2 s[10:11], s[6:7], 0x70
	s_load_dwordx4 s[16:19], s[6:7], 0x10
	s_load_dwordx4 s[12:15], s[6:7], 0x48
	s_mov_b64 s[2:3], src_shared_base
	s_load_dwordx2 s[4:5], s[4:5], 0x4
	s_waitcnt lgkmcnt(0)
	s_bitcmp1_b32 s11, 0
	s_cselect_b64 s[0:1], -1, 0
	s_and_b64 vcc, s[0:1], exec
	s_cselect_b32 s2, s3, s17
	s_lshr_b32 s4, s4, 16
	v_bfe_u32 v1, v0, 10, 10
	v_and_b32_e32 v20, 0x3ff, v0
	s_mul_i32 s4, s4, s5
	v_mul_u32_u24_e32 v2, s5, v1
	v_mad_u32_u24 v2, s4, v20, v2
	v_bfe_u32 v0, v0, 20, 10
	v_add_lshl_u32 v0, v2, v0, 3
	v_mov_b32_e32 v6, s16
	v_add_u32_e32 v7, 0x340, v0
	v_pk_mov_b32 v[2:3], s[16:17], s[16:17] op_sel:[0,1]
	v_pk_mov_b32 v[4:5], s[14:15], s[14:15] op_sel:[0,1]
	ds_write2_b64 v0, v[4:5], v[2:3] offset0:72 offset1:104
	v_cndmask_b32_e64 v2, v6, v7, s[0:1]
	v_mov_b32_e32 v3, s2
	flat_load_dwordx2 v[8:9], v[2:3]
	s_load_dwordx2 s[4:5], s[6:7], 0x58
	s_xor_b64 s[20:21], s[0:1], -1
	v_add_u32_e32 v0, 0x240, v0
	v_pk_mov_b32 v[10:11], s[18:19], s[18:19] op_sel:[0,1]
	s_cbranch_vccnz .LBB39_2
; %bb.1:
	v_pk_mov_b32 v[2:3], s[16:17], s[16:17] op_sel:[0,1]
	flat_load_dwordx2 v[10:11], v[2:3] offset:8
.LBB39_2:
	s_and_b64 s[16:17], s[0:1], exec
	s_cselect_b32 s2, s3, s15
	v_mov_b32_e32 v2, s14
	v_cndmask_b32_e64 v2, v2, v0, s[0:1]
	v_mov_b32_e32 v3, s2
	flat_load_dwordx2 v[4:5], v[2:3]
	s_andn2_b64 vcc, exec, s[20:21]
	s_waitcnt lgkmcnt(0)
	v_pk_mov_b32 v[6:7], s[4:5], s[4:5] op_sel:[0,1]
	s_cbranch_vccnz .LBB39_4
; %bb.3:
	v_pk_mov_b32 v[2:3], s[14:15], s[14:15] op_sel:[0,1]
	flat_load_dwordx2 v[6:7], v[2:3] offset:8
.LBB39_4:
	s_waitcnt vmcnt(0)
	v_cmp_eq_f64_e32 vcc, 0, v[8:9]
	v_cmp_eq_f64_e64 s[0:1], 0, v[10:11]
	s_and_b64 s[4:5], vcc, s[0:1]
	s_mov_b64 s[0:1], -1
	s_and_saveexec_b64 s[2:3], s[4:5]
	s_cbranch_execz .LBB39_6
; %bb.5:
	v_cmp_neq_f64_e32 vcc, 1.0, v[4:5]
	s_waitcnt lgkmcnt(0)
	v_cmp_neq_f64_e64 s[0:1], 0, v[6:7]
	s_or_b64 s[0:1], vcc, s[0:1]
	s_orn2_b64 s[0:1], s[0:1], exec
.LBB39_6:
	s_or_b64 exec, exec, s[2:3]
	s_and_saveexec_b64 s[2:3], s[0:1]
	s_cbranch_execz .LBB39_26
; %bb.7:
	s_load_dwordx4 s[20:23], s[6:7], 0x4
	s_mov_b32 s24, 0
	s_mov_b32 s11, 0
	s_waitcnt lgkmcnt(0)
	s_cmp_lt_i32 s8, s21
	s_cselect_b64 s[14:15], -1, 0
	s_cmp_ge_i32 s8, s21
	s_cbranch_scc1 .LBB39_9
; %bb.8:
	s_load_dwordx2 s[2:3], s[6:7], 0x20
	s_mov_b32 s0, s9
	s_ashr_i32 s9, s8, 31
	s_lshl_b64 s[4:5], s[8:9], 2
	s_mov_b32 s9, s0
	s_waitcnt lgkmcnt(0)
	s_add_u32 s0, s2, s4
	s_addc_u32 s1, s3, s5
	s_load_dwordx2 s[0:1], s[0:1], 0x0
	s_waitcnt lgkmcnt(0)
	s_sub_i32 s24, s0, s10
	s_sub_i32 s11, s1, s10
.LBB39_9:
	s_load_dwordx2 s[4:5], s[6:7], 0x60
	v_lshl_add_u32 v12, s9, 4, v1
	v_pk_mov_b32 v[14:15], 0, 0
	v_ashrrev_i32_e32 v13, 31, v12
	v_cmp_gt_i32_e64 s[0:1], s22, v12
	v_cmp_gt_u32_e64 s[2:3], 2, v20
	s_cmp_ge_i32 s24, s11
	v_pk_mov_b32 v[16:17], v[14:15], v[14:15] op_sel:[0,1]
	s_cbranch_scc1 .LBB39_21
; %bb.10:
	s_load_dwordx4 s[16:19], s[6:7], 0x28
	s_load_dwordx2 s[28:29], s[6:7], 0x40
	v_cmp_ne_u32_e32 vcc, 0, v20
	s_xor_b64 s[22:23], s[0:1], -1
	s_or_b64 s[22:23], vcc, s[22:23]
	v_cmp_eq_u32_e32 vcc, 0, v1
	v_lshlrev_b64 v[2:3], 4, v[12:13]
	s_and_b64 s[26:27], s[2:3], vcc
	s_waitcnt lgkmcnt(0)
	v_mov_b32_e32 v0, s29
	v_add_co_u32_e32 v21, vcc, s28, v2
	v_addc_co_u32_e32 v22, vcc, v0, v3, vcc
	v_mul_lo_u32 v14, v13, s12
	v_mul_lo_u32 v15, v12, s13
	v_mad_u64_u32 v[2:3], s[30:31], v12, s12, 0
	v_add3_u32 v3, v3, v15, v14
	s_cmpk_lg_i32 s20, 0x6f
	s_cselect_b64 s[20:21], -1, 0
	v_lshlrev_b64 v[2:3], 4, v[2:3]
	s_ashr_i32 s25, s24, 31
	v_lshlrev_b32_e32 v14, 1, v1
	v_add_co_u32_e32 v24, vcc, s28, v2
	s_lshl_b64 s[28:29], s[24:25], 2
	v_add_lshl_u32 v23, v14, v20, 4
	v_addc_co_u32_e32 v25, vcc, v0, v3, vcc
	v_mov_b32_e32 v0, 0x200
	s_add_u32 s16, s16, s28
	v_pk_mov_b32 v[14:15], 0, 0
	v_add_u32_e32 v26, 0x200, v23
	v_lshl_or_b32 v27, v20, 4, v0
	v_lshlrev_b32_e32 v28, 5, v1
	s_addc_u32 s17, s17, s29
	v_lshl_add_u32 v18, s24, 1, v20
	v_mov_b32_e32 v0, 0
	v_pk_mov_b32 v[16:17], v[14:15], v[14:15] op_sel:[0,1]
	s_branch .LBB39_12
.LBB39_11:                              ;   in Loop: Header=BB39_12 Depth=1
	s_or_b64 exec, exec, s[28:29]
	s_waitcnt lgkmcnt(0)
	; wave barrier
	s_waitcnt lgkmcnt(0)
	ds_read_b128 v[30:33], v27
	ds_read_b128 v[34:37], v28
	s_add_i32 s24, s24, 1
	s_add_u32 s16, s16, 4
	s_addc_u32 s17, s17, 0
	s_cmp_ge_i32 s24, s11
	s_waitcnt lgkmcnt(0)
	v_fmac_f64_e32 v[16:17], v[30:31], v[34:35]
	v_fmac_f64_e32 v[14:15], v[32:33], v[34:35]
	v_fma_f64 v[16:17], -v[32:33], v[36:37], v[16:17]
	v_fmac_f64_e32 v[14:15], v[30:31], v[36:37]
	v_add_u32_e32 v18, 2, v18
	s_waitcnt lgkmcnt(0)
	; wave barrier
	s_cbranch_scc1 .LBB39_21
.LBB39_12:                              ; =>This Inner Loop Header: Depth=1
	s_and_saveexec_b64 s[28:29], s[22:23]
	s_xor_b64 s[28:29], exec, s[28:29]
	s_cbranch_execz .LBB39_14
; %bb.13:                               ;   in Loop: Header=BB39_12 Depth=1
	v_mov_b32_e32 v1, v0
	v_mov_b32_e32 v2, v0
	;; [unrolled: 1-line block ×3, first 2 shown]
	ds_write_b128 v23, v[0:3]
.LBB39_14:                              ;   in Loop: Header=BB39_12 Depth=1
	s_andn2_saveexec_b64 s[28:29], s[28:29]
	s_cbranch_execz .LBB39_19
; %bb.15:                               ;   in Loop: Header=BB39_12 Depth=1
	s_load_dword s9, s[16:17], 0x0
	s_mov_b64 s[34:35], -1
	s_and_b64 vcc, exec, s[20:21]
	s_waitcnt lgkmcnt(0)
	s_sub_i32 s30, s9, s10
	s_ashr_i32 s31, s30, 31
	s_cbranch_vccz .LBB39_17
; %bb.16:                               ;   in Loop: Header=BB39_12 Depth=1
	s_mul_i32 s9, s30, s13
	s_mul_hi_u32 s25, s30, s12
	s_add_i32 s9, s25, s9
	s_mul_i32 s25, s31, s12
	s_add_i32 s35, s9, s25
	s_mul_i32 s34, s30, s12
	s_lshl_b64 s[34:35], s[34:35], 4
	v_mov_b32_e32 v1, s35
	v_add_co_u32_e32 v2, vcc, s34, v21
	v_addc_co_u32_e32 v3, vcc, v22, v1, vcc
	global_load_dwordx4 v[30:33], v[2:3], off
	s_mov_b64 s[34:35], 0
	s_waitcnt vmcnt(0)
	ds_write2_b64 v23, v[30:31], v[32:33] offset1:1
.LBB39_17:                              ;   in Loop: Header=BB39_12 Depth=1
	s_andn2_b64 vcc, exec, s[34:35]
	s_cbranch_vccnz .LBB39_19
; %bb.18:                               ;   in Loop: Header=BB39_12 Depth=1
	s_lshl_b64 s[30:31], s[30:31], 4
	v_mov_b32_e32 v1, s31
	v_add_co_u32_e32 v2, vcc, s30, v24
	v_addc_co_u32_e32 v3, vcc, v25, v1, vcc
	global_load_dwordx4 v[30:33], v[2:3], off
	s_waitcnt vmcnt(0)
	ds_write2_b64 v23, v[30:31], v[32:33] offset1:1
.LBB39_19:                              ;   in Loop: Header=BB39_12 Depth=1
	s_or_b64 exec, exec, s[28:29]
	s_and_saveexec_b64 s[28:29], s[26:27]
	s_cbranch_execz .LBB39_11
; %bb.20:                               ;   in Loop: Header=BB39_12 Depth=1
	v_ashrrev_i32_e32 v19, 31, v18
	v_lshlrev_b64 v[2:3], 4, v[18:19]
	v_mov_b32_e32 v1, s19
	v_add_co_u32_e32 v2, vcc, s18, v2
	v_addc_co_u32_e32 v3, vcc, v1, v3, vcc
	global_load_dwordx4 v[30:33], v[2:3], off
	s_waitcnt vmcnt(0)
	ds_write2_b64 v26, v[30:31], v[32:33] offset1:1
	s_branch .LBB39_11
.LBB39_21:
	s_and_b64 s[0:1], s[2:3], s[0:1]
	s_and_b64 s[0:1], s[14:15], s[0:1]
	s_and_b64 exec, exec, s[0:1]
	s_cbranch_execz .LBB39_26
; %bb.22:
	s_load_dwordx2 s[0:1], s[6:7], 0x68
	v_lshl_add_u32 v18, s8, 1, v20
	v_cmp_neq_f64_e32 vcc, 0, v[4:5]
	v_mul_f64 v[2:3], v[8:9], v[14:15]
	v_ashrrev_i32_e32 v19, 31, v18
	s_waitcnt lgkmcnt(0)
	v_mul_lo_u32 v0, v13, s0
	v_mul_lo_u32 v1, v12, s1
	v_mad_u64_u32 v[12:13], s[0:1], v12, s0, 0
	v_add3_u32 v13, v13, v1, v0
	v_cmp_neq_f64_e64 s[0:1], 0, v[6:7]
	v_mul_f64 v[0:1], v[14:15], -v[10:11]
	s_or_b64 s[0:1], vcc, s[0:1]
	v_lshlrev_b64 v[12:13], 4, v[12:13]
	v_fmac_f64_e32 v[0:1], v[8:9], v[16:17]
	v_fmac_f64_e32 v[2:3], v[10:11], v[16:17]
	s_and_saveexec_b64 s[2:3], s[0:1]
	s_xor_b64 s[0:1], exec, s[2:3]
	s_cbranch_execz .LBB39_24
; %bb.23:
	v_mov_b32_e32 v8, s5
	v_add_co_u32_e32 v10, vcc, s4, v12
	v_addc_co_u32_e32 v11, vcc, v8, v13, vcc
	v_lshlrev_b64 v[8:9], 4, v[18:19]
	v_add_co_u32_e32 v12, vcc, v10, v8
	v_addc_co_u32_e32 v13, vcc, v11, v9, vcc
	global_load_dwordx4 v[8:11], v[12:13], off
                                        ; implicit-def: $vgpr18
	s_waitcnt vmcnt(0)
	v_fmac_f64_e32 v[0:1], v[4:5], v[8:9]
	v_fmac_f64_e32 v[2:3], v[6:7], v[8:9]
	v_fma_f64 v[0:1], -v[6:7], v[10:11], v[0:1]
	v_fmac_f64_e32 v[2:3], v[4:5], v[10:11]
	global_store_dwordx4 v[12:13], v[0:3], off
                                        ; implicit-def: $vgpr0_vgpr1
                                        ; implicit-def: $vgpr12_vgpr13
.LBB39_24:
	s_andn2_saveexec_b64 s[0:1], s[0:1]
	s_cbranch_execz .LBB39_26
; %bb.25:
	v_mov_b32_e32 v4, s5
	v_add_co_u32_e32 v6, vcc, s4, v12
	v_addc_co_u32_e32 v7, vcc, v4, v13, vcc
	v_lshlrev_b64 v[4:5], 4, v[18:19]
	v_add_co_u32_e32 v4, vcc, v6, v4
	v_addc_co_u32_e32 v5, vcc, v7, v5, vcc
	global_store_dwordx4 v[4:5], v[0:3], off
.LBB39_26:
	s_endpgm
	.section	.rodata,"a",@progbits
	.p2align	6, 0x0
	.amdhsa_kernel _ZN9rocsparseL29gebsrmm_small_blockdim_kernelILi2ELi1ELi2ELi16E21rocsparse_complex_numIdEEEv20rocsparse_direction_20rocsparse_operation_iiNS_24const_host_device_scalarIT3_EEPKiS9_PKS6_iiSB_lS7_PS6_l21rocsparse_index_base_b
		.amdhsa_group_segment_fixed_size 1088
		.amdhsa_private_segment_fixed_size 0
		.amdhsa_kernarg_size 120
		.amdhsa_user_sgpr_count 8
		.amdhsa_user_sgpr_private_segment_buffer 1
		.amdhsa_user_sgpr_dispatch_ptr 1
		.amdhsa_user_sgpr_queue_ptr 0
		.amdhsa_user_sgpr_kernarg_segment_ptr 1
		.amdhsa_user_sgpr_dispatch_id 0
		.amdhsa_user_sgpr_flat_scratch_init 0
		.amdhsa_user_sgpr_kernarg_preload_length 0
		.amdhsa_user_sgpr_kernarg_preload_offset 0
		.amdhsa_user_sgpr_private_segment_size 0
		.amdhsa_uses_dynamic_stack 0
		.amdhsa_system_sgpr_private_segment_wavefront_offset 0
		.amdhsa_system_sgpr_workgroup_id_x 1
		.amdhsa_system_sgpr_workgroup_id_y 1
		.amdhsa_system_sgpr_workgroup_id_z 0
		.amdhsa_system_sgpr_workgroup_info 0
		.amdhsa_system_vgpr_workitem_id 2
		.amdhsa_next_free_vgpr 38
		.amdhsa_next_free_sgpr 36
		.amdhsa_accum_offset 40
		.amdhsa_reserve_vcc 1
		.amdhsa_reserve_flat_scratch 0
		.amdhsa_float_round_mode_32 0
		.amdhsa_float_round_mode_16_64 0
		.amdhsa_float_denorm_mode_32 3
		.amdhsa_float_denorm_mode_16_64 3
		.amdhsa_dx10_clamp 1
		.amdhsa_ieee_mode 1
		.amdhsa_fp16_overflow 0
		.amdhsa_tg_split 0
		.amdhsa_exception_fp_ieee_invalid_op 0
		.amdhsa_exception_fp_denorm_src 0
		.amdhsa_exception_fp_ieee_div_zero 0
		.amdhsa_exception_fp_ieee_overflow 0
		.amdhsa_exception_fp_ieee_underflow 0
		.amdhsa_exception_fp_ieee_inexact 0
		.amdhsa_exception_int_div_zero 0
	.end_amdhsa_kernel
	.section	.text._ZN9rocsparseL29gebsrmm_small_blockdim_kernelILi2ELi1ELi2ELi16E21rocsparse_complex_numIdEEEv20rocsparse_direction_20rocsparse_operation_iiNS_24const_host_device_scalarIT3_EEPKiS9_PKS6_iiSB_lS7_PS6_l21rocsparse_index_base_b,"axG",@progbits,_ZN9rocsparseL29gebsrmm_small_blockdim_kernelILi2ELi1ELi2ELi16E21rocsparse_complex_numIdEEEv20rocsparse_direction_20rocsparse_operation_iiNS_24const_host_device_scalarIT3_EEPKiS9_PKS6_iiSB_lS7_PS6_l21rocsparse_index_base_b,comdat
.Lfunc_end39:
	.size	_ZN9rocsparseL29gebsrmm_small_blockdim_kernelILi2ELi1ELi2ELi16E21rocsparse_complex_numIdEEEv20rocsparse_direction_20rocsparse_operation_iiNS_24const_host_device_scalarIT3_EEPKiS9_PKS6_iiSB_lS7_PS6_l21rocsparse_index_base_b, .Lfunc_end39-_ZN9rocsparseL29gebsrmm_small_blockdim_kernelILi2ELi1ELi2ELi16E21rocsparse_complex_numIdEEEv20rocsparse_direction_20rocsparse_operation_iiNS_24const_host_device_scalarIT3_EEPKiS9_PKS6_iiSB_lS7_PS6_l21rocsparse_index_base_b
                                        ; -- End function
	.section	.AMDGPU.csdata,"",@progbits
; Kernel info:
; codeLenInByte = 1272
; NumSgprs: 40
; NumVgprs: 38
; NumAgprs: 0
; TotalNumVgprs: 38
; ScratchSize: 0
; MemoryBound: 0
; FloatMode: 240
; IeeeMode: 1
; LDSByteSize: 1088 bytes/workgroup (compile time only)
; SGPRBlocks: 4
; VGPRBlocks: 4
; NumSGPRsForWavesPerEU: 40
; NumVGPRsForWavesPerEU: 38
; AccumOffset: 40
; Occupancy: 8
; WaveLimiterHint : 0
; COMPUTE_PGM_RSRC2:SCRATCH_EN: 0
; COMPUTE_PGM_RSRC2:USER_SGPR: 8
; COMPUTE_PGM_RSRC2:TRAP_HANDLER: 0
; COMPUTE_PGM_RSRC2:TGID_X_EN: 1
; COMPUTE_PGM_RSRC2:TGID_Y_EN: 1
; COMPUTE_PGM_RSRC2:TGID_Z_EN: 0
; COMPUTE_PGM_RSRC2:TIDIG_COMP_CNT: 2
; COMPUTE_PGM_RSRC3_GFX90A:ACCUM_OFFSET: 9
; COMPUTE_PGM_RSRC3_GFX90A:TG_SPLIT: 0
	.section	.text._ZN9rocsparseL29gebsrmm_small_blockdim_kernelILi2ELi3ELi3ELi16E21rocsparse_complex_numIdEEEv20rocsparse_direction_20rocsparse_operation_iiNS_24const_host_device_scalarIT3_EEPKiS9_PKS6_iiSB_lS7_PS6_l21rocsparse_index_base_b,"axG",@progbits,_ZN9rocsparseL29gebsrmm_small_blockdim_kernelILi2ELi3ELi3ELi16E21rocsparse_complex_numIdEEEv20rocsparse_direction_20rocsparse_operation_iiNS_24const_host_device_scalarIT3_EEPKiS9_PKS6_iiSB_lS7_PS6_l21rocsparse_index_base_b,comdat
	.globl	_ZN9rocsparseL29gebsrmm_small_blockdim_kernelILi2ELi3ELi3ELi16E21rocsparse_complex_numIdEEEv20rocsparse_direction_20rocsparse_operation_iiNS_24const_host_device_scalarIT3_EEPKiS9_PKS6_iiSB_lS7_PS6_l21rocsparse_index_base_b ; -- Begin function _ZN9rocsparseL29gebsrmm_small_blockdim_kernelILi2ELi3ELi3ELi16E21rocsparse_complex_numIdEEEv20rocsparse_direction_20rocsparse_operation_iiNS_24const_host_device_scalarIT3_EEPKiS9_PKS6_iiSB_lS7_PS6_l21rocsparse_index_base_b
	.p2align	8
	.type	_ZN9rocsparseL29gebsrmm_small_blockdim_kernelILi2ELi3ELi3ELi16E21rocsparse_complex_numIdEEEv20rocsparse_direction_20rocsparse_operation_iiNS_24const_host_device_scalarIT3_EEPKiS9_PKS6_iiSB_lS7_PS6_l21rocsparse_index_base_b,@function
_ZN9rocsparseL29gebsrmm_small_blockdim_kernelILi2ELi3ELi3ELi16E21rocsparse_complex_numIdEEEv20rocsparse_direction_20rocsparse_operation_iiNS_24const_host_device_scalarIT3_EEPKiS9_PKS6_iiSB_lS7_PS6_l21rocsparse_index_base_b: ; @_ZN9rocsparseL29gebsrmm_small_blockdim_kernelILi2ELi3ELi3ELi16E21rocsparse_complex_numIdEEEv20rocsparse_direction_20rocsparse_operation_iiNS_24const_host_device_scalarIT3_EEPKiS9_PKS6_iiSB_lS7_PS6_l21rocsparse_index_base_b
; %bb.0:
	s_load_dwordx2 s[10:11], s[6:7], 0x70
	s_load_dwordx4 s[16:19], s[6:7], 0x10
	s_load_dwordx4 s[12:15], s[6:7], 0x48
	s_mov_b64 s[2:3], src_shared_base
	s_load_dwordx2 s[4:5], s[4:5], 0x4
	s_waitcnt lgkmcnt(0)
	s_bitcmp1_b32 s11, 0
	s_cselect_b64 s[0:1], -1, 0
	s_and_b64 vcc, s[0:1], exec
	s_cselect_b32 s2, s3, s17
	s_lshr_b32 s4, s4, 16
	v_bfe_u32 v1, v0, 10, 10
	v_and_b32_e32 v18, 0x3ff, v0
	s_mul_i32 s4, s4, s5
	v_mul_u32_u24_e32 v2, s5, v1
	v_mad_u32_u24 v2, s4, v18, v2
	v_bfe_u32 v0, v0, 20, 10
	v_add_lshl_u32 v0, v2, v0, 3
	v_mov_b32_e32 v6, s16
	v_add_u32_e32 v7, 0x510, v0
	v_pk_mov_b32 v[2:3], s[16:17], s[16:17] op_sel:[0,1]
	v_pk_mov_b32 v[4:5], s[14:15], s[14:15] op_sel:[0,1]
	ds_write2_b64 v0, v[4:5], v[2:3] offset0:114 offset1:162
	v_cndmask_b32_e64 v2, v6, v7, s[0:1]
	v_mov_b32_e32 v3, s2
	flat_load_dwordx2 v[8:9], v[2:3]
	s_load_dwordx2 s[4:5], s[6:7], 0x58
	s_xor_b64 s[20:21], s[0:1], -1
	v_add_u32_e32 v0, 0x390, v0
	v_pk_mov_b32 v[10:11], s[18:19], s[18:19] op_sel:[0,1]
	s_cbranch_vccnz .LBB40_2
; %bb.1:
	v_pk_mov_b32 v[2:3], s[16:17], s[16:17] op_sel:[0,1]
	flat_load_dwordx2 v[10:11], v[2:3] offset:8
.LBB40_2:
	s_and_b64 s[16:17], s[0:1], exec
	s_cselect_b32 s2, s3, s15
	v_mov_b32_e32 v2, s14
	v_cndmask_b32_e64 v2, v2, v0, s[0:1]
	v_mov_b32_e32 v3, s2
	flat_load_dwordx2 v[4:5], v[2:3]
	s_andn2_b64 vcc, exec, s[20:21]
	s_waitcnt lgkmcnt(0)
	v_pk_mov_b32 v[6:7], s[4:5], s[4:5] op_sel:[0,1]
	s_cbranch_vccnz .LBB40_4
; %bb.3:
	v_pk_mov_b32 v[2:3], s[14:15], s[14:15] op_sel:[0,1]
	flat_load_dwordx2 v[6:7], v[2:3] offset:8
.LBB40_4:
	s_waitcnt vmcnt(0)
	v_cmp_eq_f64_e32 vcc, 0, v[8:9]
	v_cmp_eq_f64_e64 s[0:1], 0, v[10:11]
	s_and_b64 s[4:5], vcc, s[0:1]
	s_mov_b64 s[0:1], -1
	s_and_saveexec_b64 s[2:3], s[4:5]
	s_cbranch_execz .LBB40_6
; %bb.5:
	v_cmp_neq_f64_e32 vcc, 1.0, v[4:5]
	s_waitcnt lgkmcnt(0)
	v_cmp_neq_f64_e64 s[0:1], 0, v[6:7]
	s_or_b64 s[0:1], vcc, s[0:1]
	s_orn2_b64 s[0:1], s[0:1], exec
.LBB40_6:
	s_or_b64 exec, exec, s[2:3]
	s_and_saveexec_b64 s[2:3], s[0:1]
	s_cbranch_execz .LBB40_26
; %bb.7:
	s_load_dwordx4 s[20:23], s[6:7], 0x0
	s_mov_b32 s26, 0
	s_mov_b32 s11, 0
	s_waitcnt lgkmcnt(0)
	s_cmp_lt_i32 s8, s22
	s_cselect_b64 s[24:25], -1, 0
	s_cmp_ge_i32 s8, s22
	s_cbranch_scc1 .LBB40_9
; %bb.8:
	s_load_dwordx2 s[2:3], s[6:7], 0x20
	s_mov_b32 s0, s9
	s_ashr_i32 s9, s8, 31
	s_lshl_b64 s[4:5], s[8:9], 2
	s_mov_b32 s9, s0
	s_waitcnt lgkmcnt(0)
	s_add_u32 s0, s2, s4
	s_addc_u32 s1, s3, s5
	s_load_dwordx2 s[0:1], s[0:1], 0x0
	s_waitcnt lgkmcnt(0)
	s_sub_i32 s26, s0, s10
	s_sub_i32 s11, s1, s10
.LBB40_9:
	s_load_dwordx2 s[14:15], s[6:7], 0x60
	v_lshl_add_u32 v12, s9, 4, v1
	v_pk_mov_b32 v[14:15], 0, 0
	v_ashrrev_i32_e32 v13, 31, v12
	v_cmp_gt_i32_e64 s[0:1], s23, v12
	v_cmp_gt_u32_e64 s[2:3], 2, v18
	s_cmp_ge_i32 s26, s11
	v_pk_mov_b32 v[16:17], v[14:15], v[14:15] op_sel:[0,1]
	s_cbranch_scc1 .LBB40_21
; %bb.10:
	s_load_dwordx4 s[16:19], s[6:7], 0x28
	s_load_dwordx2 s[4:5], s[6:7], 0x40
	v_cmp_lt_u32_e32 vcc, 2, v18
	s_xor_b64 s[22:23], s[0:1], -1
	s_or_b64 s[22:23], vcc, s[22:23]
	v_cmp_gt_u32_e32 vcc, 3, v1
	v_lshlrev_b64 v[2:3], 4, v[12:13]
	s_and_b64 s[28:29], s[2:3], vcc
	s_waitcnt lgkmcnt(0)
	v_mov_b32_e32 v0, s5
	v_add_co_u32_e32 v19, vcc, s4, v2
	v_addc_co_u32_e32 v20, vcc, v0, v3, vcc
	v_mul_lo_u32 v14, v13, s12
	v_mul_lo_u32 v15, v12, s13
	v_mad_u64_u32 v[2:3], s[30:31], v12, s12, 0
	v_add3_u32 v3, v3, v15, v14
	s_cmpk_lg_i32 s21, 0x6f
	v_lshlrev_b64 v[2:3], 4, v[2:3]
	s_cselect_b64 s[30:31], -1, 0
	v_add_co_u32_e32 v2, vcc, s4, v2
	s_cmp_eq_u32 s20, 0
	v_addc_co_u32_e32 v0, vcc, v0, v3, vcc
	v_lshlrev_b32_e32 v3, 4, v18
	s_cselect_b64 s[4:5], -1, 0
	s_ashr_i32 s27, s26, 31
	v_mul_u32_u24_e32 v14, 3, v1
	v_add_co_u32_e32 v22, vcc, v2, v3
	s_lshl_b64 s[20:21], s[26:27], 2
	v_add_lshl_u32 v21, v14, v18, 4
	v_addc_co_u32_e32 v23, vcc, 0, v0, vcc
	v_lshlrev_b32_e32 v0, 1, v1
	v_mul_u32_u24_e32 v2, 3, v18
	v_lshlrev_b32_e32 v26, 4, v14
	s_add_u32 s16, s16, s20
	s_mul_i32 s9, s26, 6
	v_pk_mov_b32 v[14:15], 0, 0
	v_add_u32_e32 v24, 0x300, v21
	v_add_u32_e32 v25, 0x300, v3
	s_addc_u32 s17, s17, s21
	v_add3_u32 v27, v18, s9, v0
	v_add3_u32 v28, v2, v1, s9
	v_mov_b32_e32 v0, 0
	v_pk_mov_b32 v[16:17], v[14:15], v[14:15] op_sel:[0,1]
	s_branch .LBB40_12
.LBB40_11:                              ;   in Loop: Header=BB40_12 Depth=1
	s_or_b64 exec, exec, s[20:21]
	s_waitcnt lgkmcnt(0)
	; wave barrier
	s_waitcnt lgkmcnt(0)
	ds_read_b128 v[30:33], v26
	ds_read_b128 v[34:37], v25
	ds_read_b128 v[38:41], v25 offset:48
	ds_read_b128 v[42:45], v26 offset:16
	;; [unrolled: 1-line block ×4, first 2 shown]
	s_waitcnt lgkmcnt(4)
	v_fmac_f64_e32 v[16:17], v[34:35], v[30:31]
	v_fmac_f64_e32 v[14:15], v[36:37], v[30:31]
	v_fma_f64 v[2:3], -v[36:37], v[32:33], v[16:17]
	v_fmac_f64_e32 v[14:15], v[34:35], v[32:33]
	s_waitcnt lgkmcnt(2)
	v_fmac_f64_e32 v[2:3], v[38:39], v[42:43]
	v_fmac_f64_e32 v[14:15], v[40:41], v[42:43]
	s_add_i32 s26, s26, 1
	v_fma_f64 v[2:3], -v[40:41], v[44:45], v[2:3]
	v_fmac_f64_e32 v[14:15], v[38:39], v[44:45]
	s_add_u32 s16, s16, 4
	s_waitcnt lgkmcnt(0)
	v_fmac_f64_e32 v[2:3], v[50:51], v[46:47]
	v_fmac_f64_e32 v[14:15], v[52:53], v[46:47]
	s_addc_u32 s17, s17, 0
	v_fma_f64 v[16:17], -v[52:53], v[48:49], v[2:3]
	v_fmac_f64_e32 v[14:15], v[50:51], v[48:49]
	v_add_u32_e32 v27, 6, v27
	s_cmp_ge_i32 s26, s11
	v_add_u32_e32 v28, 6, v28
	s_waitcnt lgkmcnt(0)
	; wave barrier
	s_cbranch_scc1 .LBB40_21
.LBB40_12:                              ; =>This Inner Loop Header: Depth=1
	s_and_saveexec_b64 s[20:21], s[22:23]
	s_xor_b64 s[20:21], exec, s[20:21]
	s_cbranch_execz .LBB40_14
; %bb.13:                               ;   in Loop: Header=BB40_12 Depth=1
	v_mov_b32_e32 v1, v0
	v_mov_b32_e32 v2, v0
	;; [unrolled: 1-line block ×3, first 2 shown]
	ds_write_b128 v21, v[0:3]
.LBB40_14:                              ;   in Loop: Header=BB40_12 Depth=1
	s_andn2_saveexec_b64 s[20:21], s[20:21]
	s_cbranch_execz .LBB40_19
; %bb.15:                               ;   in Loop: Header=BB40_12 Depth=1
	s_load_dword s9, s[16:17], 0x0
	s_mov_b64 s[36:37], -1
	s_and_b64 vcc, exec, s[30:31]
	s_waitcnt lgkmcnt(0)
	s_sub_i32 s9, s9, s10
	s_mul_i32 s34, s9, 3
	s_cbranch_vccz .LBB40_17
; %bb.16:                               ;   in Loop: Header=BB40_12 Depth=1
	v_add_u32_e32 v1, s34, v18
	v_ashrrev_i32_e32 v2, 31, v1
	v_mul_lo_u32 v29, v2, s12
	v_mul_lo_u32 v30, v1, s13
	v_mad_u64_u32 v[2:3], s[36:37], v1, s12, 0
	v_add3_u32 v3, v3, v30, v29
	v_lshlrev_b64 v[2:3], 4, v[2:3]
	v_add_co_u32_e32 v2, vcc, v19, v2
	v_addc_co_u32_e32 v3, vcc, v20, v3, vcc
	global_load_dwordx4 v[30:33], v[2:3], off
	s_mov_b64 s[36:37], 0
	s_waitcnt vmcnt(0)
	ds_write2_b64 v21, v[30:31], v[32:33] offset1:1
.LBB40_17:                              ;   in Loop: Header=BB40_12 Depth=1
	s_andn2_b64 vcc, exec, s[36:37]
	s_cbranch_vccnz .LBB40_19
; %bb.18:                               ;   in Loop: Header=BB40_12 Depth=1
	s_ashr_i32 s35, s34, 31
	s_lshl_b64 s[34:35], s[34:35], 4
	v_mov_b32_e32 v1, s35
	v_add_co_u32_e32 v2, vcc, s34, v22
	v_addc_co_u32_e32 v3, vcc, v23, v1, vcc
	global_load_dwordx4 v[30:33], v[2:3], off
	s_waitcnt vmcnt(0)
	ds_write2_b64 v21, v[30:31], v[32:33] offset1:1
.LBB40_19:                              ;   in Loop: Header=BB40_12 Depth=1
	s_or_b64 exec, exec, s[20:21]
	s_and_saveexec_b64 s[20:21], s[28:29]
	s_cbranch_execz .LBB40_11
; %bb.20:                               ;   in Loop: Header=BB40_12 Depth=1
	v_cndmask_b32_e64 v2, v27, v28, s[4:5]
	v_ashrrev_i32_e32 v3, 31, v2
	v_lshlrev_b64 v[2:3], 4, v[2:3]
	v_mov_b32_e32 v1, s19
	v_add_co_u32_e32 v2, vcc, s18, v2
	v_addc_co_u32_e32 v3, vcc, v1, v3, vcc
	global_load_dwordx4 v[30:33], v[2:3], off
	s_waitcnt vmcnt(0)
	ds_write2_b64 v24, v[30:31], v[32:33] offset1:1
	s_branch .LBB40_11
.LBB40_21:
	s_and_b64 s[0:1], s[2:3], s[0:1]
	s_and_b64 s[0:1], s[24:25], s[0:1]
	s_and_b64 exec, exec, s[0:1]
	s_cbranch_execz .LBB40_26
; %bb.22:
	s_load_dwordx2 s[0:1], s[6:7], 0x68
	v_lshl_add_u32 v18, s8, 1, v18
	v_cmp_neq_f64_e32 vcc, 0, v[4:5]
	v_mul_f64 v[2:3], v[8:9], v[14:15]
	v_ashrrev_i32_e32 v19, 31, v18
	s_waitcnt lgkmcnt(0)
	v_mul_lo_u32 v0, v13, s0
	v_mul_lo_u32 v1, v12, s1
	v_mad_u64_u32 v[12:13], s[0:1], v12, s0, 0
	v_add3_u32 v13, v13, v1, v0
	v_cmp_neq_f64_e64 s[0:1], 0, v[6:7]
	v_mul_f64 v[0:1], v[14:15], -v[10:11]
	s_or_b64 s[0:1], vcc, s[0:1]
	v_lshlrev_b64 v[12:13], 4, v[12:13]
	v_fmac_f64_e32 v[0:1], v[8:9], v[16:17]
	v_fmac_f64_e32 v[2:3], v[10:11], v[16:17]
	s_and_saveexec_b64 s[2:3], s[0:1]
	s_xor_b64 s[0:1], exec, s[2:3]
	s_cbranch_execz .LBB40_24
; %bb.23:
	v_mov_b32_e32 v8, s15
	v_add_co_u32_e32 v10, vcc, s14, v12
	v_addc_co_u32_e32 v11, vcc, v8, v13, vcc
	v_lshlrev_b64 v[8:9], 4, v[18:19]
	v_add_co_u32_e32 v12, vcc, v10, v8
	v_addc_co_u32_e32 v13, vcc, v11, v9, vcc
	global_load_dwordx4 v[8:11], v[12:13], off
                                        ; implicit-def: $vgpr18
	s_waitcnt vmcnt(0)
	v_fmac_f64_e32 v[0:1], v[4:5], v[8:9]
	v_fmac_f64_e32 v[2:3], v[6:7], v[8:9]
	v_fma_f64 v[0:1], -v[6:7], v[10:11], v[0:1]
	v_fmac_f64_e32 v[2:3], v[4:5], v[10:11]
	global_store_dwordx4 v[12:13], v[0:3], off
                                        ; implicit-def: $vgpr0_vgpr1
                                        ; implicit-def: $vgpr12_vgpr13
.LBB40_24:
	s_andn2_saveexec_b64 s[0:1], s[0:1]
	s_cbranch_execz .LBB40_26
; %bb.25:
	v_mov_b32_e32 v4, s15
	v_add_co_u32_e32 v6, vcc, s14, v12
	v_addc_co_u32_e32 v7, vcc, v4, v13, vcc
	v_lshlrev_b64 v[4:5], 4, v[18:19]
	v_add_co_u32_e32 v4, vcc, v6, v4
	v_addc_co_u32_e32 v5, vcc, v7, v5, vcc
	global_store_dwordx4 v[4:5], v[0:3], off
.LBB40_26:
	s_endpgm
	.section	.rodata,"a",@progbits
	.p2align	6, 0x0
	.amdhsa_kernel _ZN9rocsparseL29gebsrmm_small_blockdim_kernelILi2ELi3ELi3ELi16E21rocsparse_complex_numIdEEEv20rocsparse_direction_20rocsparse_operation_iiNS_24const_host_device_scalarIT3_EEPKiS9_PKS6_iiSB_lS7_PS6_l21rocsparse_index_base_b
		.amdhsa_group_segment_fixed_size 1680
		.amdhsa_private_segment_fixed_size 0
		.amdhsa_kernarg_size 120
		.amdhsa_user_sgpr_count 8
		.amdhsa_user_sgpr_private_segment_buffer 1
		.amdhsa_user_sgpr_dispatch_ptr 1
		.amdhsa_user_sgpr_queue_ptr 0
		.amdhsa_user_sgpr_kernarg_segment_ptr 1
		.amdhsa_user_sgpr_dispatch_id 0
		.amdhsa_user_sgpr_flat_scratch_init 0
		.amdhsa_user_sgpr_kernarg_preload_length 0
		.amdhsa_user_sgpr_kernarg_preload_offset 0
		.amdhsa_user_sgpr_private_segment_size 0
		.amdhsa_uses_dynamic_stack 0
		.amdhsa_system_sgpr_private_segment_wavefront_offset 0
		.amdhsa_system_sgpr_workgroup_id_x 1
		.amdhsa_system_sgpr_workgroup_id_y 1
		.amdhsa_system_sgpr_workgroup_id_z 0
		.amdhsa_system_sgpr_workgroup_info 0
		.amdhsa_system_vgpr_workitem_id 2
		.amdhsa_next_free_vgpr 54
		.amdhsa_next_free_sgpr 38
		.amdhsa_accum_offset 56
		.amdhsa_reserve_vcc 1
		.amdhsa_reserve_flat_scratch 0
		.amdhsa_float_round_mode_32 0
		.amdhsa_float_round_mode_16_64 0
		.amdhsa_float_denorm_mode_32 3
		.amdhsa_float_denorm_mode_16_64 3
		.amdhsa_dx10_clamp 1
		.amdhsa_ieee_mode 1
		.amdhsa_fp16_overflow 0
		.amdhsa_tg_split 0
		.amdhsa_exception_fp_ieee_invalid_op 0
		.amdhsa_exception_fp_denorm_src 0
		.amdhsa_exception_fp_ieee_div_zero 0
		.amdhsa_exception_fp_ieee_overflow 0
		.amdhsa_exception_fp_ieee_underflow 0
		.amdhsa_exception_fp_ieee_inexact 0
		.amdhsa_exception_int_div_zero 0
	.end_amdhsa_kernel
	.section	.text._ZN9rocsparseL29gebsrmm_small_blockdim_kernelILi2ELi3ELi3ELi16E21rocsparse_complex_numIdEEEv20rocsparse_direction_20rocsparse_operation_iiNS_24const_host_device_scalarIT3_EEPKiS9_PKS6_iiSB_lS7_PS6_l21rocsparse_index_base_b,"axG",@progbits,_ZN9rocsparseL29gebsrmm_small_blockdim_kernelILi2ELi3ELi3ELi16E21rocsparse_complex_numIdEEEv20rocsparse_direction_20rocsparse_operation_iiNS_24const_host_device_scalarIT3_EEPKiS9_PKS6_iiSB_lS7_PS6_l21rocsparse_index_base_b,comdat
.Lfunc_end40:
	.size	_ZN9rocsparseL29gebsrmm_small_blockdim_kernelILi2ELi3ELi3ELi16E21rocsparse_complex_numIdEEEv20rocsparse_direction_20rocsparse_operation_iiNS_24const_host_device_scalarIT3_EEPKiS9_PKS6_iiSB_lS7_PS6_l21rocsparse_index_base_b, .Lfunc_end40-_ZN9rocsparseL29gebsrmm_small_blockdim_kernelILi2ELi3ELi3ELi16E21rocsparse_complex_numIdEEEv20rocsparse_direction_20rocsparse_operation_iiNS_24const_host_device_scalarIT3_EEPKiS9_PKS6_iiSB_lS7_PS6_l21rocsparse_index_base_b
                                        ; -- End function
	.section	.AMDGPU.csdata,"",@progbits
; Kernel info:
; codeLenInByte = 1416
; NumSgprs: 42
; NumVgprs: 54
; NumAgprs: 0
; TotalNumVgprs: 54
; ScratchSize: 0
; MemoryBound: 0
; FloatMode: 240
; IeeeMode: 1
; LDSByteSize: 1680 bytes/workgroup (compile time only)
; SGPRBlocks: 5
; VGPRBlocks: 6
; NumSGPRsForWavesPerEU: 42
; NumVGPRsForWavesPerEU: 54
; AccumOffset: 56
; Occupancy: 8
; WaveLimiterHint : 0
; COMPUTE_PGM_RSRC2:SCRATCH_EN: 0
; COMPUTE_PGM_RSRC2:USER_SGPR: 8
; COMPUTE_PGM_RSRC2:TRAP_HANDLER: 0
; COMPUTE_PGM_RSRC2:TGID_X_EN: 1
; COMPUTE_PGM_RSRC2:TGID_Y_EN: 1
; COMPUTE_PGM_RSRC2:TGID_Z_EN: 0
; COMPUTE_PGM_RSRC2:TIDIG_COMP_CNT: 2
; COMPUTE_PGM_RSRC3_GFX90A:ACCUM_OFFSET: 13
; COMPUTE_PGM_RSRC3_GFX90A:TG_SPLIT: 0
	.section	.text._ZN9rocsparseL29gebsrmm_small_blockdim_kernelILi2ELi4ELi4ELi16E21rocsparse_complex_numIdEEEv20rocsparse_direction_20rocsparse_operation_iiNS_24const_host_device_scalarIT3_EEPKiS9_PKS6_iiSB_lS7_PS6_l21rocsparse_index_base_b,"axG",@progbits,_ZN9rocsparseL29gebsrmm_small_blockdim_kernelILi2ELi4ELi4ELi16E21rocsparse_complex_numIdEEEv20rocsparse_direction_20rocsparse_operation_iiNS_24const_host_device_scalarIT3_EEPKiS9_PKS6_iiSB_lS7_PS6_l21rocsparse_index_base_b,comdat
	.globl	_ZN9rocsparseL29gebsrmm_small_blockdim_kernelILi2ELi4ELi4ELi16E21rocsparse_complex_numIdEEEv20rocsparse_direction_20rocsparse_operation_iiNS_24const_host_device_scalarIT3_EEPKiS9_PKS6_iiSB_lS7_PS6_l21rocsparse_index_base_b ; -- Begin function _ZN9rocsparseL29gebsrmm_small_blockdim_kernelILi2ELi4ELi4ELi16E21rocsparse_complex_numIdEEEv20rocsparse_direction_20rocsparse_operation_iiNS_24const_host_device_scalarIT3_EEPKiS9_PKS6_iiSB_lS7_PS6_l21rocsparse_index_base_b
	.p2align	8
	.type	_ZN9rocsparseL29gebsrmm_small_blockdim_kernelILi2ELi4ELi4ELi16E21rocsparse_complex_numIdEEEv20rocsparse_direction_20rocsparse_operation_iiNS_24const_host_device_scalarIT3_EEPKiS9_PKS6_iiSB_lS7_PS6_l21rocsparse_index_base_b,@function
_ZN9rocsparseL29gebsrmm_small_blockdim_kernelILi2ELi4ELi4ELi16E21rocsparse_complex_numIdEEEv20rocsparse_direction_20rocsparse_operation_iiNS_24const_host_device_scalarIT3_EEPKiS9_PKS6_iiSB_lS7_PS6_l21rocsparse_index_base_b: ; @_ZN9rocsparseL29gebsrmm_small_blockdim_kernelILi2ELi4ELi4ELi16E21rocsparse_complex_numIdEEEv20rocsparse_direction_20rocsparse_operation_iiNS_24const_host_device_scalarIT3_EEPKiS9_PKS6_iiSB_lS7_PS6_l21rocsparse_index_base_b
; %bb.0:
	s_add_u32 flat_scratch_lo, s8, s12
	s_addc_u32 flat_scratch_hi, s9, 0
	s_add_u32 s0, s0, s12
	s_load_dwordx2 s[24:25], s[6:7], 0x70
	s_load_dwordx4 s[16:19], s[6:7], 0x10
	s_load_dwordx4 s[12:15], s[6:7], 0x48
	s_load_dwordx2 s[20:21], s[4:5], 0x4
	s_addc_u32 s1, s1, 0
	s_waitcnt lgkmcnt(0)
	s_bitcmp1_b32 s25, 0
	s_cselect_b64 s[4:5], -1, 0
	s_mov_b64 s[8:9], src_shared_base
	s_and_b64 vcc, s[4:5], exec
	s_cselect_b32 s8, s9, s17
	s_lshr_b32 s9, s20, 16
	v_bfe_u32 v1, v0, 10, 10
	v_and_b32_e32 v20, 0x3ff, v0
	s_mul_i32 s9, s9, s21
	v_mul_u32_u24_e32 v2, s21, v1
	v_mad_u32_u24 v2, s9, v20, v2
	v_bfe_u32 v0, v0, 20, 10
	v_add_lshl_u32 v0, v2, v0, 3
	v_pk_mov_b32 v[2:3], s[16:17], s[16:17] op_sel:[0,1]
	v_add_u32_e32 v5, 0x500, v0
	ds_write_b64 v0, v[2:3] offset:1280
	v_mov_b32_e32 v0, s14
	v_mov_b32_e32 v4, s16
	buffer_store_dword v0, off, s[0:3], 0
	v_mov_b32_e32 v0, s15
	buffer_store_dword v0, off, s[0:3], 0 offset:4
	v_cndmask_b32_e64 v2, v4, v5, s[4:5]
	v_mov_b32_e32 v3, s8
	flat_load_dwordx2 v[8:9], v[2:3]
	s_load_dwordx2 s[8:9], s[6:7], 0x58
	s_xor_b64 s[20:21], s[4:5], -1
	v_pk_mov_b32 v[10:11], s[18:19], s[18:19] op_sel:[0,1]
	s_cbranch_vccnz .LBB41_2
; %bb.1:
	v_pk_mov_b32 v[2:3], s[16:17], s[16:17] op_sel:[0,1]
	flat_load_dwordx2 v[10:11], v[2:3] offset:8
.LBB41_2:
	s_mov_b64 s[16:17], src_private_base
	s_and_b64 s[18:19], s[4:5], exec
	s_cselect_b32 s16, s17, s15
	v_mov_b32_e32 v0, 0
	v_mov_b32_e32 v2, s14
	v_cndmask_b32_e64 v2, v2, v0, s[4:5]
	v_mov_b32_e32 v3, s16
	flat_load_dwordx2 v[4:5], v[2:3]
	s_andn2_b64 vcc, exec, s[20:21]
	s_waitcnt lgkmcnt(0)
	v_pk_mov_b32 v[6:7], s[8:9], s[8:9] op_sel:[0,1]
	s_cbranch_vccnz .LBB41_4
; %bb.3:
	v_pk_mov_b32 v[2:3], s[14:15], s[14:15] op_sel:[0,1]
	flat_load_dwordx2 v[6:7], v[2:3] offset:8
.LBB41_4:
	s_waitcnt vmcnt(0)
	v_cmp_eq_f64_e32 vcc, 0, v[8:9]
	v_cmp_eq_f64_e64 s[4:5], 0, v[10:11]
	s_and_b64 s[14:15], vcc, s[4:5]
	s_mov_b64 s[4:5], -1
	s_and_saveexec_b64 s[8:9], s[14:15]
	s_cbranch_execz .LBB41_6
; %bb.5:
	v_cmp_neq_f64_e32 vcc, 1.0, v[4:5]
	s_waitcnt lgkmcnt(0)
	v_cmp_neq_f64_e64 s[4:5], 0, v[6:7]
	s_or_b64 s[4:5], vcc, s[4:5]
	s_orn2_b64 s[4:5], s[4:5], exec
.LBB41_6:
	s_or_b64 exec, exec, s[8:9]
	s_and_saveexec_b64 s[8:9], s[4:5]
	s_cbranch_execz .LBB41_26
; %bb.7:
	s_load_dwordx4 s[20:23], s[6:7], 0x0
	s_mov_b32 s28, 0
	s_mov_b32 s25, 0
	s_waitcnt lgkmcnt(0)
	s_cmp_lt_i32 s10, s22
	s_cselect_b64 s[26:27], -1, 0
	s_cmp_ge_i32 s10, s22
	s_cbranch_scc1 .LBB41_9
; %bb.8:
	s_load_dwordx2 s[8:9], s[6:7], 0x20
	s_mov_b32 s4, s11
	s_ashr_i32 s11, s10, 31
	s_lshl_b64 s[14:15], s[10:11], 2
	s_mov_b32 s11, s4
	s_waitcnt lgkmcnt(0)
	s_add_u32 s4, s8, s14
	s_addc_u32 s5, s9, s15
	s_load_dwordx2 s[4:5], s[4:5], 0x0
	s_waitcnt lgkmcnt(0)
	s_sub_i32 s28, s4, s24
	s_sub_i32 s25, s5, s24
.LBB41_9:
	s_load_dwordx2 s[14:15], s[6:7], 0x60
	v_lshl_add_u32 v12, s11, 4, v1
	v_pk_mov_b32 v[14:15], 0, 0
	v_ashrrev_i32_e32 v13, 31, v12
	v_cmp_gt_i32_e64 s[4:5], s23, v12
	v_cmp_gt_u32_e64 s[8:9], 2, v20
	s_cmp_ge_i32 s28, s25
	v_pk_mov_b32 v[18:19], v[14:15], v[14:15] op_sel:[0,1]
	s_cbranch_scc1 .LBB41_21
; %bb.10:
	s_load_dwordx4 s[16:19], s[6:7], 0x28
	s_load_dwordx2 s[36:37], s[6:7], 0x40
	v_cmp_lt_u32_e32 vcc, 3, v20
	s_xor_b64 s[22:23], s[4:5], -1
	s_or_b64 s[22:23], vcc, s[22:23]
	v_cmp_gt_u32_e32 vcc, 4, v1
	v_lshlrev_b64 v[2:3], 4, v[12:13]
	s_and_b64 s[30:31], s[8:9], vcc
	s_waitcnt lgkmcnt(0)
	v_mov_b32_e32 v0, s37
	v_add_co_u32_e32 v21, vcc, s36, v2
	v_addc_co_u32_e32 v22, vcc, v0, v3, vcc
	v_mul_lo_u32 v14, v13, s12
	v_mul_lo_u32 v15, v12, s13
	v_mad_u64_u32 v[2:3], s[34:35], v12, s12, 0
	v_add3_u32 v3, v3, v15, v14
	v_lshlrev_b64 v[2:3], 4, v[2:3]
	v_add_co_u32_e32 v2, vcc, s36, v2
	v_addc_co_u32_e32 v0, vcc, v0, v3, vcc
	v_lshlrev_b32_e32 v3, 4, v20
	s_cmpk_lg_i32 s21, 0x6f
	v_add_co_u32_e32 v24, vcc, v2, v3
	s_cselect_b64 s[34:35], -1, 0
	v_addc_co_u32_e32 v25, vcc, 0, v0, vcc
	s_cmp_eq_u32 s20, 0
	s_cselect_b64 vcc, -1, 0
	s_ashr_i32 s29, s28, 31
	s_lshl_b64 s[20:21], s[28:29], 2
	v_lshlrev_b32_e32 v14, 2, v1
	v_lshlrev_b32_e32 v0, 1, v1
	;; [unrolled: 1-line block ×3, first 2 shown]
	s_add_u32 s16, s16, s20
	v_add_lshl_u32 v23, v14, v20, 4
	v_lshlrev_b32_e32 v28, 6, v1
	v_cndmask_b32_e32 v0, v0, v2, vcc
	v_cndmask_b32_e32 v1, v20, v1, vcc
	s_addc_u32 s17, s17, s21
	s_lshl_b32 s11, s28, 3
	v_pk_mov_b32 v[14:15], 0, 0
	v_add_u32_e32 v26, 0x400, v23
	v_or_b32_e32 v27, 0x400, v3
	v_add3_u32 v16, v1, v0, s11
	v_mov_b32_e32 v0, 0
	v_pk_mov_b32 v[18:19], v[14:15], v[14:15] op_sel:[0,1]
	s_branch .LBB41_12
.LBB41_11:                              ;   in Loop: Header=BB41_12 Depth=1
	s_or_b64 exec, exec, s[20:21]
	s_waitcnt lgkmcnt(0)
	; wave barrier
	s_waitcnt lgkmcnt(0)
	ds_read_b128 v[30:33], v27
	ds_read_b128 v[34:37], v28
	ds_read_b128 v[38:41], v28 offset:16
	ds_read_b128 v[42:45], v28 offset:32
	;; [unrolled: 1-line block ×4, first 2 shown]
	s_waitcnt lgkmcnt(4)
	v_fmac_f64_e32 v[18:19], v[30:31], v[34:35]
	v_fmac_f64_e32 v[14:15], v[32:33], v[34:35]
	v_fma_f64 v[2:3], -v[32:33], v[36:37], v[18:19]
	v_fmac_f64_e32 v[14:15], v[30:31], v[36:37]
	ds_read_b128 v[30:33], v27 offset:128
	ds_read_b128 v[34:37], v27 offset:192
	s_waitcnt lgkmcnt(2)
	v_fmac_f64_e32 v[2:3], v[50:51], v[38:39]
	v_fmac_f64_e32 v[14:15], v[52:53], v[38:39]
	v_fma_f64 v[2:3], -v[52:53], v[40:41], v[2:3]
	v_fmac_f64_e32 v[14:15], v[50:51], v[40:41]
	s_waitcnt lgkmcnt(1)
	v_fmac_f64_e32 v[2:3], v[30:31], v[42:43]
	v_fmac_f64_e32 v[14:15], v[32:33], v[42:43]
	s_add_i32 s28, s28, 1
	v_fma_f64 v[2:3], -v[32:33], v[44:45], v[2:3]
	v_fmac_f64_e32 v[14:15], v[30:31], v[44:45]
	s_add_u32 s16, s16, 4
	s_waitcnt lgkmcnt(0)
	v_fmac_f64_e32 v[2:3], v[34:35], v[46:47]
	v_fmac_f64_e32 v[14:15], v[36:37], v[46:47]
	s_addc_u32 s17, s17, 0
	v_fma_f64 v[18:19], -v[36:37], v[48:49], v[2:3]
	v_fmac_f64_e32 v[14:15], v[34:35], v[48:49]
	s_cmp_ge_i32 s28, s25
	v_add_u32_e32 v16, 8, v16
	s_waitcnt lgkmcnt(0)
	; wave barrier
	s_cbranch_scc1 .LBB41_21
.LBB41_12:                              ; =>This Inner Loop Header: Depth=1
	s_and_saveexec_b64 s[20:21], s[22:23]
	s_xor_b64 s[20:21], exec, s[20:21]
	s_cbranch_execz .LBB41_14
; %bb.13:                               ;   in Loop: Header=BB41_12 Depth=1
	v_mov_b32_e32 v1, v0
	v_mov_b32_e32 v2, v0
	;; [unrolled: 1-line block ×3, first 2 shown]
	ds_write_b128 v23, v[0:3]
.LBB41_14:                              ;   in Loop: Header=BB41_12 Depth=1
	s_andn2_saveexec_b64 s[20:21], s[20:21]
	s_cbranch_execz .LBB41_19
; %bb.15:                               ;   in Loop: Header=BB41_12 Depth=1
	s_load_dword s11, s[16:17], 0x0
	s_mov_b64 s[38:39], -1
	s_and_b64 vcc, exec, s[34:35]
	s_waitcnt lgkmcnt(0)
	s_sub_i32 s11, s11, s24
	s_lshl_b32 s36, s11, 2
	s_cbranch_vccz .LBB41_17
; %bb.16:                               ;   in Loop: Header=BB41_12 Depth=1
	v_or_b32_e32 v1, s36, v20
	s_ashr_i32 s11, s36, 31
	v_mul_lo_u32 v17, v1, s13
	s_mul_i32 s11, s11, s12
	v_mad_u64_u32 v[2:3], s[38:39], v1, s12, 0
	v_add3_u32 v3, v3, v17, s11
	v_lshlrev_b64 v[2:3], 4, v[2:3]
	v_add_co_u32_e32 v2, vcc, v21, v2
	v_addc_co_u32_e32 v3, vcc, v22, v3, vcc
	global_load_dwordx4 v[30:33], v[2:3], off
	s_mov_b64 s[38:39], 0
	s_waitcnt vmcnt(0)
	ds_write2_b64 v23, v[30:31], v[32:33] offset1:1
.LBB41_17:                              ;   in Loop: Header=BB41_12 Depth=1
	s_andn2_b64 vcc, exec, s[38:39]
	s_cbranch_vccnz .LBB41_19
; %bb.18:                               ;   in Loop: Header=BB41_12 Depth=1
	s_ashr_i32 s37, s36, 31
	s_lshl_b64 s[36:37], s[36:37], 4
	v_mov_b32_e32 v1, s37
	v_add_co_u32_e32 v2, vcc, s36, v24
	v_addc_co_u32_e32 v3, vcc, v25, v1, vcc
	global_load_dwordx4 v[30:33], v[2:3], off
	s_waitcnt vmcnt(0)
	ds_write2_b64 v23, v[30:31], v[32:33] offset1:1
.LBB41_19:                              ;   in Loop: Header=BB41_12 Depth=1
	s_or_b64 exec, exec, s[20:21]
	s_and_saveexec_b64 s[20:21], s[30:31]
	s_cbranch_execz .LBB41_11
; %bb.20:                               ;   in Loop: Header=BB41_12 Depth=1
	v_ashrrev_i32_e32 v17, 31, v16
	v_lshlrev_b64 v[2:3], 4, v[16:17]
	v_mov_b32_e32 v1, s19
	v_add_co_u32_e32 v2, vcc, s18, v2
	v_addc_co_u32_e32 v3, vcc, v1, v3, vcc
	global_load_dwordx4 v[30:33], v[2:3], off
	s_waitcnt vmcnt(0)
	ds_write2_b64 v26, v[30:31], v[32:33] offset1:1
	s_branch .LBB41_11
.LBB41_21:
	s_and_b64 s[4:5], s[8:9], s[4:5]
	s_and_b64 s[4:5], s[26:27], s[4:5]
	s_and_b64 exec, exec, s[4:5]
	s_cbranch_execz .LBB41_26
; %bb.22:
	s_load_dwordx2 s[4:5], s[6:7], 0x68
	v_lshl_add_u32 v16, s10, 1, v20
	v_cmp_neq_f64_e32 vcc, 0, v[4:5]
	v_mul_f64 v[2:3], v[8:9], v[14:15]
	v_ashrrev_i32_e32 v17, 31, v16
	s_waitcnt lgkmcnt(0)
	v_mul_lo_u32 v0, v13, s4
	v_mul_lo_u32 v1, v12, s5
	v_mad_u64_u32 v[12:13], s[4:5], v12, s4, 0
	v_add3_u32 v13, v13, v1, v0
	v_cmp_neq_f64_e64 s[4:5], 0, v[6:7]
	v_mul_f64 v[0:1], v[14:15], -v[10:11]
	s_or_b64 s[4:5], vcc, s[4:5]
	v_lshlrev_b64 v[12:13], 4, v[12:13]
	v_fmac_f64_e32 v[0:1], v[8:9], v[18:19]
	v_fmac_f64_e32 v[2:3], v[10:11], v[18:19]
	s_and_saveexec_b64 s[6:7], s[4:5]
	s_xor_b64 s[4:5], exec, s[6:7]
	s_cbranch_execz .LBB41_24
; %bb.23:
	v_mov_b32_e32 v8, s15
	v_add_co_u32_e32 v10, vcc, s14, v12
	v_addc_co_u32_e32 v11, vcc, v8, v13, vcc
	v_lshlrev_b64 v[8:9], 4, v[16:17]
	v_add_co_u32_e32 v12, vcc, v10, v8
	v_addc_co_u32_e32 v13, vcc, v11, v9, vcc
	global_load_dwordx4 v[8:11], v[12:13], off
                                        ; implicit-def: $vgpr16
	s_waitcnt vmcnt(0)
	v_fmac_f64_e32 v[0:1], v[4:5], v[8:9]
	v_fmac_f64_e32 v[2:3], v[6:7], v[8:9]
	v_fma_f64 v[0:1], -v[6:7], v[10:11], v[0:1]
	v_fmac_f64_e32 v[2:3], v[4:5], v[10:11]
	global_store_dwordx4 v[12:13], v[0:3], off
                                        ; implicit-def: $vgpr0_vgpr1
                                        ; implicit-def: $vgpr12_vgpr13
.LBB41_24:
	s_andn2_saveexec_b64 s[4:5], s[4:5]
	s_cbranch_execz .LBB41_26
; %bb.25:
	v_mov_b32_e32 v4, s15
	v_add_co_u32_e32 v6, vcc, s14, v12
	v_addc_co_u32_e32 v7, vcc, v4, v13, vcc
	v_lshlrev_b64 v[4:5], 4, v[16:17]
	v_add_co_u32_e32 v4, vcc, v6, v4
	v_addc_co_u32_e32 v5, vcc, v7, v5, vcc
	global_store_dwordx4 v[4:5], v[0:3], off
.LBB41_26:
	s_endpgm
	.section	.rodata,"a",@progbits
	.p2align	6, 0x0
	.amdhsa_kernel _ZN9rocsparseL29gebsrmm_small_blockdim_kernelILi2ELi4ELi4ELi16E21rocsparse_complex_numIdEEEv20rocsparse_direction_20rocsparse_operation_iiNS_24const_host_device_scalarIT3_EEPKiS9_PKS6_iiSB_lS7_PS6_l21rocsparse_index_base_b
		.amdhsa_group_segment_fixed_size 1792
		.amdhsa_private_segment_fixed_size 16
		.amdhsa_kernarg_size 120
		.amdhsa_user_sgpr_count 10
		.amdhsa_user_sgpr_private_segment_buffer 1
		.amdhsa_user_sgpr_dispatch_ptr 1
		.amdhsa_user_sgpr_queue_ptr 0
		.amdhsa_user_sgpr_kernarg_segment_ptr 1
		.amdhsa_user_sgpr_dispatch_id 0
		.amdhsa_user_sgpr_flat_scratch_init 1
		.amdhsa_user_sgpr_kernarg_preload_length 0
		.amdhsa_user_sgpr_kernarg_preload_offset 0
		.amdhsa_user_sgpr_private_segment_size 0
		.amdhsa_uses_dynamic_stack 0
		.amdhsa_system_sgpr_private_segment_wavefront_offset 1
		.amdhsa_system_sgpr_workgroup_id_x 1
		.amdhsa_system_sgpr_workgroup_id_y 1
		.amdhsa_system_sgpr_workgroup_id_z 0
		.amdhsa_system_sgpr_workgroup_info 0
		.amdhsa_system_vgpr_workitem_id 2
		.amdhsa_next_free_vgpr 54
		.amdhsa_next_free_sgpr 40
		.amdhsa_accum_offset 56
		.amdhsa_reserve_vcc 1
		.amdhsa_reserve_flat_scratch 1
		.amdhsa_float_round_mode_32 0
		.amdhsa_float_round_mode_16_64 0
		.amdhsa_float_denorm_mode_32 3
		.amdhsa_float_denorm_mode_16_64 3
		.amdhsa_dx10_clamp 1
		.amdhsa_ieee_mode 1
		.amdhsa_fp16_overflow 0
		.amdhsa_tg_split 0
		.amdhsa_exception_fp_ieee_invalid_op 0
		.amdhsa_exception_fp_denorm_src 0
		.amdhsa_exception_fp_ieee_div_zero 0
		.amdhsa_exception_fp_ieee_overflow 0
		.amdhsa_exception_fp_ieee_underflow 0
		.amdhsa_exception_fp_ieee_inexact 0
		.amdhsa_exception_int_div_zero 0
	.end_amdhsa_kernel
	.section	.text._ZN9rocsparseL29gebsrmm_small_blockdim_kernelILi2ELi4ELi4ELi16E21rocsparse_complex_numIdEEEv20rocsparse_direction_20rocsparse_operation_iiNS_24const_host_device_scalarIT3_EEPKiS9_PKS6_iiSB_lS7_PS6_l21rocsparse_index_base_b,"axG",@progbits,_ZN9rocsparseL29gebsrmm_small_blockdim_kernelILi2ELi4ELi4ELi16E21rocsparse_complex_numIdEEEv20rocsparse_direction_20rocsparse_operation_iiNS_24const_host_device_scalarIT3_EEPKiS9_PKS6_iiSB_lS7_PS6_l21rocsparse_index_base_b,comdat
.Lfunc_end41:
	.size	_ZN9rocsparseL29gebsrmm_small_blockdim_kernelILi2ELi4ELi4ELi16E21rocsparse_complex_numIdEEEv20rocsparse_direction_20rocsparse_operation_iiNS_24const_host_device_scalarIT3_EEPKiS9_PKS6_iiSB_lS7_PS6_l21rocsparse_index_base_b, .Lfunc_end41-_ZN9rocsparseL29gebsrmm_small_blockdim_kernelILi2ELi4ELi4ELi16E21rocsparse_complex_numIdEEEv20rocsparse_direction_20rocsparse_operation_iiNS_24const_host_device_scalarIT3_EEPKiS9_PKS6_iiSB_lS7_PS6_l21rocsparse_index_base_b
                                        ; -- End function
	.section	.AMDGPU.csdata,"",@progbits
; Kernel info:
; codeLenInByte = 1472
; NumSgprs: 46
; NumVgprs: 54
; NumAgprs: 0
; TotalNumVgprs: 54
; ScratchSize: 16
; MemoryBound: 0
; FloatMode: 240
; IeeeMode: 1
; LDSByteSize: 1792 bytes/workgroup (compile time only)
; SGPRBlocks: 5
; VGPRBlocks: 6
; NumSGPRsForWavesPerEU: 46
; NumVGPRsForWavesPerEU: 54
; AccumOffset: 56
; Occupancy: 8
; WaveLimiterHint : 0
; COMPUTE_PGM_RSRC2:SCRATCH_EN: 1
; COMPUTE_PGM_RSRC2:USER_SGPR: 10
; COMPUTE_PGM_RSRC2:TRAP_HANDLER: 0
; COMPUTE_PGM_RSRC2:TGID_X_EN: 1
; COMPUTE_PGM_RSRC2:TGID_Y_EN: 1
; COMPUTE_PGM_RSRC2:TGID_Z_EN: 0
; COMPUTE_PGM_RSRC2:TIDIG_COMP_CNT: 2
; COMPUTE_PGM_RSRC3_GFX90A:ACCUM_OFFSET: 13
; COMPUTE_PGM_RSRC3_GFX90A:TG_SPLIT: 0
	.section	.text._ZN9rocsparseL29gebsrmm_small_blockdim_kernelILi3ELi1ELi3ELi16E21rocsparse_complex_numIdEEEv20rocsparse_direction_20rocsparse_operation_iiNS_24const_host_device_scalarIT3_EEPKiS9_PKS6_iiSB_lS7_PS6_l21rocsparse_index_base_b,"axG",@progbits,_ZN9rocsparseL29gebsrmm_small_blockdim_kernelILi3ELi1ELi3ELi16E21rocsparse_complex_numIdEEEv20rocsparse_direction_20rocsparse_operation_iiNS_24const_host_device_scalarIT3_EEPKiS9_PKS6_iiSB_lS7_PS6_l21rocsparse_index_base_b,comdat
	.globl	_ZN9rocsparseL29gebsrmm_small_blockdim_kernelILi3ELi1ELi3ELi16E21rocsparse_complex_numIdEEEv20rocsparse_direction_20rocsparse_operation_iiNS_24const_host_device_scalarIT3_EEPKiS9_PKS6_iiSB_lS7_PS6_l21rocsparse_index_base_b ; -- Begin function _ZN9rocsparseL29gebsrmm_small_blockdim_kernelILi3ELi1ELi3ELi16E21rocsparse_complex_numIdEEEv20rocsparse_direction_20rocsparse_operation_iiNS_24const_host_device_scalarIT3_EEPKiS9_PKS6_iiSB_lS7_PS6_l21rocsparse_index_base_b
	.p2align	8
	.type	_ZN9rocsparseL29gebsrmm_small_blockdim_kernelILi3ELi1ELi3ELi16E21rocsparse_complex_numIdEEEv20rocsparse_direction_20rocsparse_operation_iiNS_24const_host_device_scalarIT3_EEPKiS9_PKS6_iiSB_lS7_PS6_l21rocsparse_index_base_b,@function
_ZN9rocsparseL29gebsrmm_small_blockdim_kernelILi3ELi1ELi3ELi16E21rocsparse_complex_numIdEEEv20rocsparse_direction_20rocsparse_operation_iiNS_24const_host_device_scalarIT3_EEPKiS9_PKS6_iiSB_lS7_PS6_l21rocsparse_index_base_b: ; @_ZN9rocsparseL29gebsrmm_small_blockdim_kernelILi3ELi1ELi3ELi16E21rocsparse_complex_numIdEEEv20rocsparse_direction_20rocsparse_operation_iiNS_24const_host_device_scalarIT3_EEPKiS9_PKS6_iiSB_lS7_PS6_l21rocsparse_index_base_b
; %bb.0:
	s_load_dwordx2 s[10:11], s[6:7], 0x70
	s_load_dwordx4 s[16:19], s[6:7], 0x10
	s_load_dwordx4 s[12:15], s[6:7], 0x48
	s_mov_b64 s[2:3], src_shared_base
	s_load_dwordx2 s[4:5], s[4:5], 0x4
	s_waitcnt lgkmcnt(0)
	s_bitcmp1_b32 s11, 0
	s_cselect_b64 s[0:1], -1, 0
	s_and_b64 vcc, s[0:1], exec
	s_cselect_b32 s2, s3, s17
	s_lshr_b32 s4, s4, 16
	v_bfe_u32 v1, v0, 10, 10
	v_and_b32_e32 v10, 0x3ff, v0
	s_mul_i32 s4, s4, s5
	v_mul_u32_u24_e32 v2, s5, v1
	v_mad_u32_u24 v2, s4, v10, v2
	v_bfe_u32 v0, v0, 20, 10
	v_add_lshl_u32 v0, v2, v0, 3
	v_mov_b32_e32 v6, s16
	v_add_u32_e32 v7, 0x510, v0
	v_pk_mov_b32 v[2:3], s[16:17], s[16:17] op_sel:[0,1]
	v_pk_mov_b32 v[4:5], s[14:15], s[14:15] op_sel:[0,1]
	ds_write2_b64 v0, v[4:5], v[2:3] offset0:114 offset1:162
	v_cndmask_b32_e64 v2, v6, v7, s[0:1]
	v_mov_b32_e32 v3, s2
	flat_load_dwordx2 v[8:9], v[2:3]
	s_load_dwordx2 s[4:5], s[6:7], 0x58
	s_xor_b64 s[20:21], s[0:1], -1
	v_add_u32_e32 v0, 0x390, v0
	v_pk_mov_b32 v[12:13], s[18:19], s[18:19] op_sel:[0,1]
	s_cbranch_vccnz .LBB42_2
; %bb.1:
	v_pk_mov_b32 v[2:3], s[16:17], s[16:17] op_sel:[0,1]
	flat_load_dwordx2 v[12:13], v[2:3] offset:8
.LBB42_2:
	s_and_b64 s[16:17], s[0:1], exec
	s_cselect_b32 s2, s3, s15
	v_mov_b32_e32 v2, s14
	v_cndmask_b32_e64 v2, v2, v0, s[0:1]
	v_mov_b32_e32 v3, s2
	flat_load_dwordx2 v[4:5], v[2:3]
	s_andn2_b64 vcc, exec, s[20:21]
	s_waitcnt lgkmcnt(0)
	v_pk_mov_b32 v[6:7], s[4:5], s[4:5] op_sel:[0,1]
	s_cbranch_vccnz .LBB42_4
; %bb.3:
	v_pk_mov_b32 v[2:3], s[14:15], s[14:15] op_sel:[0,1]
	flat_load_dwordx2 v[6:7], v[2:3] offset:8
.LBB42_4:
	s_waitcnt vmcnt(0)
	v_cmp_eq_f64_e32 vcc, 0, v[8:9]
	v_cmp_eq_f64_e64 s[0:1], 0, v[12:13]
	s_and_b64 s[4:5], vcc, s[0:1]
	s_mov_b64 s[0:1], -1
	s_and_saveexec_b64 s[2:3], s[4:5]
	s_cbranch_execz .LBB42_6
; %bb.5:
	v_cmp_neq_f64_e32 vcc, 1.0, v[4:5]
	s_waitcnt lgkmcnt(0)
	v_cmp_neq_f64_e64 s[0:1], 0, v[6:7]
	s_or_b64 s[0:1], vcc, s[0:1]
	s_orn2_b64 s[0:1], s[0:1], exec
.LBB42_6:
	s_or_b64 exec, exec, s[2:3]
	s_and_saveexec_b64 s[2:3], s[0:1]
	s_cbranch_execz .LBB42_26
; %bb.7:
	s_load_dwordx4 s[20:23], s[6:7], 0x4
	s_mov_b32 s24, 0
	s_mov_b32 s11, 0
	s_waitcnt lgkmcnt(0)
	s_cmp_lt_i32 s8, s21
	s_cselect_b64 s[14:15], -1, 0
	s_cmp_ge_i32 s8, s21
	s_cbranch_scc1 .LBB42_9
; %bb.8:
	s_load_dwordx2 s[2:3], s[6:7], 0x20
	s_mov_b32 s0, s9
	s_ashr_i32 s9, s8, 31
	s_lshl_b64 s[4:5], s[8:9], 2
	s_mov_b32 s9, s0
	s_waitcnt lgkmcnt(0)
	s_add_u32 s0, s2, s4
	s_addc_u32 s1, s3, s5
	s_load_dwordx2 s[0:1], s[0:1], 0x0
	s_waitcnt lgkmcnt(0)
	s_sub_i32 s24, s0, s10
	s_sub_i32 s11, s1, s10
.LBB42_9:
	s_load_dwordx2 s[4:5], s[6:7], 0x60
	v_lshl_add_u32 v14, s9, 4, v1
	v_pk_mov_b32 v[16:17], 0, 0
	v_ashrrev_i32_e32 v15, 31, v14
	v_cmp_gt_i32_e64 s[0:1], s22, v14
	v_cmp_gt_u32_e64 s[2:3], 3, v10
	s_cmp_ge_i32 s24, s11
	v_pk_mov_b32 v[18:19], v[16:17], v[16:17] op_sel:[0,1]
	s_cbranch_scc1 .LBB42_21
; %bb.10:
	s_load_dwordx4 s[16:19], s[6:7], 0x28
	s_load_dwordx2 s[28:29], s[6:7], 0x40
	v_cmp_ne_u32_e32 vcc, 0, v10
	s_xor_b64 s[22:23], s[0:1], -1
	s_or_b64 s[22:23], vcc, s[22:23]
	v_cmp_eq_u32_e32 vcc, 0, v1
	v_lshlrev_b64 v[2:3], 4, v[14:15]
	s_and_b64 s[26:27], s[2:3], vcc
	s_waitcnt lgkmcnt(0)
	v_mov_b32_e32 v16, s29
	v_add_co_u32_e32 v11, vcc, s28, v2
	v_addc_co_u32_e32 v22, vcc, v16, v3, vcc
	v_mul_lo_u32 v0, v15, s12
	v_mul_lo_u32 v17, v14, s13
	v_mad_u64_u32 v[2:3], s[30:31], v14, s12, 0
	v_add3_u32 v3, v3, v17, v0
	s_cmpk_lg_i32 s20, 0x6f
	v_mul_u32_u24_e32 v17, 3, v1
	s_cselect_b64 s[20:21], -1, 0
	v_lshlrev_b64 v[0:1], 4, v[2:3]
	s_ashr_i32 s25, s24, 31
	v_add_co_u32_e32 v24, vcc, s28, v0
	s_lshl_b64 s[28:29], s[24:25], 2
	v_add_lshl_u32 v23, v17, v10, 4
	v_addc_co_u32_e32 v25, vcc, v16, v1, vcc
	v_mov_b32_e32 v0, 0x300
	v_lshlrev_b32_e32 v28, 4, v17
	s_add_u32 s16, s16, s28
	v_pk_mov_b32 v[16:17], 0, 0
	v_add_u32_e32 v26, 0x300, v23
	v_lshl_add_u32 v27, v10, 4, v0
	s_addc_u32 s17, s17, s29
	v_mad_u64_u32 v[20:21], s[28:29], s24, 3, v[10:11]
	v_mov_b32_e32 v0, 0
	v_pk_mov_b32 v[18:19], v[16:17], v[16:17] op_sel:[0,1]
	s_branch .LBB42_12
.LBB42_11:                              ;   in Loop: Header=BB42_12 Depth=1
	s_or_b64 exec, exec, s[28:29]
	s_waitcnt lgkmcnt(0)
	; wave barrier
	s_waitcnt lgkmcnt(0)
	ds_read_b128 v[30:33], v27
	ds_read_b128 v[34:37], v28
	s_add_i32 s24, s24, 1
	s_add_u32 s16, s16, 4
	s_addc_u32 s17, s17, 0
	s_cmp_ge_i32 s24, s11
	s_waitcnt lgkmcnt(0)
	v_fmac_f64_e32 v[18:19], v[30:31], v[34:35]
	v_fmac_f64_e32 v[16:17], v[32:33], v[34:35]
	v_fma_f64 v[18:19], -v[32:33], v[36:37], v[18:19]
	v_fmac_f64_e32 v[16:17], v[30:31], v[36:37]
	v_add_u32_e32 v20, 3, v20
	s_waitcnt lgkmcnt(0)
	; wave barrier
	s_cbranch_scc1 .LBB42_21
.LBB42_12:                              ; =>This Inner Loop Header: Depth=1
	s_and_saveexec_b64 s[28:29], s[22:23]
	s_xor_b64 s[28:29], exec, s[28:29]
	s_cbranch_execz .LBB42_14
; %bb.13:                               ;   in Loop: Header=BB42_12 Depth=1
	v_mov_b32_e32 v1, v0
	v_mov_b32_e32 v2, v0
	;; [unrolled: 1-line block ×3, first 2 shown]
	ds_write_b128 v23, v[0:3]
.LBB42_14:                              ;   in Loop: Header=BB42_12 Depth=1
	s_andn2_saveexec_b64 s[28:29], s[28:29]
	s_cbranch_execz .LBB42_19
; %bb.15:                               ;   in Loop: Header=BB42_12 Depth=1
	s_load_dword s9, s[16:17], 0x0
	s_mov_b64 s[34:35], -1
	s_and_b64 vcc, exec, s[20:21]
	s_waitcnt lgkmcnt(0)
	s_sub_i32 s30, s9, s10
	s_ashr_i32 s31, s30, 31
	s_cbranch_vccz .LBB42_17
; %bb.16:                               ;   in Loop: Header=BB42_12 Depth=1
	s_mul_i32 s9, s30, s13
	s_mul_hi_u32 s25, s30, s12
	s_add_i32 s9, s25, s9
	s_mul_i32 s25, s31, s12
	s_add_i32 s35, s9, s25
	s_mul_i32 s34, s30, s12
	s_lshl_b64 s[34:35], s[34:35], 4
	v_mov_b32_e32 v1, s35
	v_add_co_u32_e32 v2, vcc, s34, v11
	v_addc_co_u32_e32 v3, vcc, v22, v1, vcc
	global_load_dwordx4 v[30:33], v[2:3], off
	s_mov_b64 s[34:35], 0
	s_waitcnt vmcnt(0)
	ds_write2_b64 v23, v[30:31], v[32:33] offset1:1
.LBB42_17:                              ;   in Loop: Header=BB42_12 Depth=1
	s_andn2_b64 vcc, exec, s[34:35]
	s_cbranch_vccnz .LBB42_19
; %bb.18:                               ;   in Loop: Header=BB42_12 Depth=1
	s_lshl_b64 s[30:31], s[30:31], 4
	v_mov_b32_e32 v1, s31
	v_add_co_u32_e32 v2, vcc, s30, v24
	v_addc_co_u32_e32 v3, vcc, v25, v1, vcc
	global_load_dwordx4 v[30:33], v[2:3], off
	s_waitcnt vmcnt(0)
	ds_write2_b64 v23, v[30:31], v[32:33] offset1:1
.LBB42_19:                              ;   in Loop: Header=BB42_12 Depth=1
	s_or_b64 exec, exec, s[28:29]
	s_and_saveexec_b64 s[28:29], s[26:27]
	s_cbranch_execz .LBB42_11
; %bb.20:                               ;   in Loop: Header=BB42_12 Depth=1
	v_ashrrev_i32_e32 v21, 31, v20
	v_lshlrev_b64 v[2:3], 4, v[20:21]
	v_mov_b32_e32 v1, s19
	v_add_co_u32_e32 v2, vcc, s18, v2
	v_addc_co_u32_e32 v3, vcc, v1, v3, vcc
	global_load_dwordx4 v[30:33], v[2:3], off
	s_waitcnt vmcnt(0)
	ds_write2_b64 v26, v[30:31], v[32:33] offset1:1
	s_branch .LBB42_11
.LBB42_21:
	s_and_b64 s[0:1], s[2:3], s[0:1]
	s_and_b64 s[0:1], s[14:15], s[0:1]
	s_and_b64 exec, exec, s[0:1]
	s_cbranch_execz .LBB42_26
; %bb.22:
	s_load_dwordx2 s[0:1], s[6:7], 0x68
	v_mad_u64_u32 v[10:11], s[2:3], s8, 3, v[10:11]
	v_cmp_neq_f64_e32 vcc, 0, v[4:5]
	v_mul_f64 v[2:3], v[8:9], v[16:17]
	s_waitcnt lgkmcnt(0)
	v_mul_lo_u32 v0, v15, s0
	v_mul_lo_u32 v1, v14, s1
	v_mad_u64_u32 v[14:15], s[0:1], v14, s0, 0
	v_add3_u32 v15, v15, v1, v0
	v_cmp_neq_f64_e64 s[0:1], 0, v[6:7]
	v_mul_f64 v[0:1], v[16:17], -v[12:13]
	s_or_b64 s[0:1], vcc, s[0:1]
	v_ashrrev_i32_e32 v11, 31, v10
	v_lshlrev_b64 v[14:15], 4, v[14:15]
	v_fmac_f64_e32 v[0:1], v[8:9], v[18:19]
	v_fmac_f64_e32 v[2:3], v[12:13], v[18:19]
	s_and_saveexec_b64 s[2:3], s[0:1]
	s_xor_b64 s[0:1], exec, s[2:3]
	s_cbranch_execz .LBB42_24
; %bb.23:
	v_mov_b32_e32 v8, s5
	v_add_co_u32_e32 v12, vcc, s4, v14
	v_addc_co_u32_e32 v13, vcc, v8, v15, vcc
	v_lshlrev_b64 v[8:9], 4, v[10:11]
	v_add_co_u32_e32 v12, vcc, v12, v8
	v_addc_co_u32_e32 v13, vcc, v13, v9, vcc
	global_load_dwordx4 v[8:11], v[12:13], off
                                        ; implicit-def: $vgpr14_vgpr15
	s_waitcnt vmcnt(0)
	v_fmac_f64_e32 v[0:1], v[4:5], v[8:9]
	v_fmac_f64_e32 v[2:3], v[6:7], v[8:9]
	v_fma_f64 v[0:1], -v[6:7], v[10:11], v[0:1]
	v_fmac_f64_e32 v[2:3], v[4:5], v[10:11]
	global_store_dwordx4 v[12:13], v[0:3], off
                                        ; implicit-def: $vgpr0_vgpr1
                                        ; implicit-def: $vgpr10_vgpr11
.LBB42_24:
	s_andn2_saveexec_b64 s[0:1], s[0:1]
	s_cbranch_execz .LBB42_26
; %bb.25:
	v_mov_b32_e32 v4, s5
	v_add_co_u32_e32 v6, vcc, s4, v14
	v_addc_co_u32_e32 v7, vcc, v4, v15, vcc
	v_lshlrev_b64 v[4:5], 4, v[10:11]
	v_add_co_u32_e32 v4, vcc, v6, v4
	v_addc_co_u32_e32 v5, vcc, v7, v5, vcc
	global_store_dwordx4 v[4:5], v[0:3], off
.LBB42_26:
	s_endpgm
	.section	.rodata,"a",@progbits
	.p2align	6, 0x0
	.amdhsa_kernel _ZN9rocsparseL29gebsrmm_small_blockdim_kernelILi3ELi1ELi3ELi16E21rocsparse_complex_numIdEEEv20rocsparse_direction_20rocsparse_operation_iiNS_24const_host_device_scalarIT3_EEPKiS9_PKS6_iiSB_lS7_PS6_l21rocsparse_index_base_b
		.amdhsa_group_segment_fixed_size 1680
		.amdhsa_private_segment_fixed_size 0
		.amdhsa_kernarg_size 120
		.amdhsa_user_sgpr_count 8
		.amdhsa_user_sgpr_private_segment_buffer 1
		.amdhsa_user_sgpr_dispatch_ptr 1
		.amdhsa_user_sgpr_queue_ptr 0
		.amdhsa_user_sgpr_kernarg_segment_ptr 1
		.amdhsa_user_sgpr_dispatch_id 0
		.amdhsa_user_sgpr_flat_scratch_init 0
		.amdhsa_user_sgpr_kernarg_preload_length 0
		.amdhsa_user_sgpr_kernarg_preload_offset 0
		.amdhsa_user_sgpr_private_segment_size 0
		.amdhsa_uses_dynamic_stack 0
		.amdhsa_system_sgpr_private_segment_wavefront_offset 0
		.amdhsa_system_sgpr_workgroup_id_x 1
		.amdhsa_system_sgpr_workgroup_id_y 1
		.amdhsa_system_sgpr_workgroup_id_z 0
		.amdhsa_system_sgpr_workgroup_info 0
		.amdhsa_system_vgpr_workitem_id 2
		.amdhsa_next_free_vgpr 38
		.amdhsa_next_free_sgpr 36
		.amdhsa_accum_offset 40
		.amdhsa_reserve_vcc 1
		.amdhsa_reserve_flat_scratch 0
		.amdhsa_float_round_mode_32 0
		.amdhsa_float_round_mode_16_64 0
		.amdhsa_float_denorm_mode_32 3
		.amdhsa_float_denorm_mode_16_64 3
		.amdhsa_dx10_clamp 1
		.amdhsa_ieee_mode 1
		.amdhsa_fp16_overflow 0
		.amdhsa_tg_split 0
		.amdhsa_exception_fp_ieee_invalid_op 0
		.amdhsa_exception_fp_denorm_src 0
		.amdhsa_exception_fp_ieee_div_zero 0
		.amdhsa_exception_fp_ieee_overflow 0
		.amdhsa_exception_fp_ieee_underflow 0
		.amdhsa_exception_fp_ieee_inexact 0
		.amdhsa_exception_int_div_zero 0
	.end_amdhsa_kernel
	.section	.text._ZN9rocsparseL29gebsrmm_small_blockdim_kernelILi3ELi1ELi3ELi16E21rocsparse_complex_numIdEEEv20rocsparse_direction_20rocsparse_operation_iiNS_24const_host_device_scalarIT3_EEPKiS9_PKS6_iiSB_lS7_PS6_l21rocsparse_index_base_b,"axG",@progbits,_ZN9rocsparseL29gebsrmm_small_blockdim_kernelILi3ELi1ELi3ELi16E21rocsparse_complex_numIdEEEv20rocsparse_direction_20rocsparse_operation_iiNS_24const_host_device_scalarIT3_EEPKiS9_PKS6_iiSB_lS7_PS6_l21rocsparse_index_base_b,comdat
.Lfunc_end42:
	.size	_ZN9rocsparseL29gebsrmm_small_blockdim_kernelILi3ELi1ELi3ELi16E21rocsparse_complex_numIdEEEv20rocsparse_direction_20rocsparse_operation_iiNS_24const_host_device_scalarIT3_EEPKiS9_PKS6_iiSB_lS7_PS6_l21rocsparse_index_base_b, .Lfunc_end42-_ZN9rocsparseL29gebsrmm_small_blockdim_kernelILi3ELi1ELi3ELi16E21rocsparse_complex_numIdEEEv20rocsparse_direction_20rocsparse_operation_iiNS_24const_host_device_scalarIT3_EEPKiS9_PKS6_iiSB_lS7_PS6_l21rocsparse_index_base_b
                                        ; -- End function
	.section	.AMDGPU.csdata,"",@progbits
; Kernel info:
; codeLenInByte = 1272
; NumSgprs: 40
; NumVgprs: 38
; NumAgprs: 0
; TotalNumVgprs: 38
; ScratchSize: 0
; MemoryBound: 0
; FloatMode: 240
; IeeeMode: 1
; LDSByteSize: 1680 bytes/workgroup (compile time only)
; SGPRBlocks: 4
; VGPRBlocks: 4
; NumSGPRsForWavesPerEU: 40
; NumVGPRsForWavesPerEU: 38
; AccumOffset: 40
; Occupancy: 8
; WaveLimiterHint : 0
; COMPUTE_PGM_RSRC2:SCRATCH_EN: 0
; COMPUTE_PGM_RSRC2:USER_SGPR: 8
; COMPUTE_PGM_RSRC2:TRAP_HANDLER: 0
; COMPUTE_PGM_RSRC2:TGID_X_EN: 1
; COMPUTE_PGM_RSRC2:TGID_Y_EN: 1
; COMPUTE_PGM_RSRC2:TGID_Z_EN: 0
; COMPUTE_PGM_RSRC2:TIDIG_COMP_CNT: 2
; COMPUTE_PGM_RSRC3_GFX90A:ACCUM_OFFSET: 9
; COMPUTE_PGM_RSRC3_GFX90A:TG_SPLIT: 0
	.section	.text._ZN9rocsparseL29gebsrmm_small_blockdim_kernelILi3ELi2ELi3ELi16E21rocsparse_complex_numIdEEEv20rocsparse_direction_20rocsparse_operation_iiNS_24const_host_device_scalarIT3_EEPKiS9_PKS6_iiSB_lS7_PS6_l21rocsparse_index_base_b,"axG",@progbits,_ZN9rocsparseL29gebsrmm_small_blockdim_kernelILi3ELi2ELi3ELi16E21rocsparse_complex_numIdEEEv20rocsparse_direction_20rocsparse_operation_iiNS_24const_host_device_scalarIT3_EEPKiS9_PKS6_iiSB_lS7_PS6_l21rocsparse_index_base_b,comdat
	.globl	_ZN9rocsparseL29gebsrmm_small_blockdim_kernelILi3ELi2ELi3ELi16E21rocsparse_complex_numIdEEEv20rocsparse_direction_20rocsparse_operation_iiNS_24const_host_device_scalarIT3_EEPKiS9_PKS6_iiSB_lS7_PS6_l21rocsparse_index_base_b ; -- Begin function _ZN9rocsparseL29gebsrmm_small_blockdim_kernelILi3ELi2ELi3ELi16E21rocsparse_complex_numIdEEEv20rocsparse_direction_20rocsparse_operation_iiNS_24const_host_device_scalarIT3_EEPKiS9_PKS6_iiSB_lS7_PS6_l21rocsparse_index_base_b
	.p2align	8
	.type	_ZN9rocsparseL29gebsrmm_small_blockdim_kernelILi3ELi2ELi3ELi16E21rocsparse_complex_numIdEEEv20rocsparse_direction_20rocsparse_operation_iiNS_24const_host_device_scalarIT3_EEPKiS9_PKS6_iiSB_lS7_PS6_l21rocsparse_index_base_b,@function
_ZN9rocsparseL29gebsrmm_small_blockdim_kernelILi3ELi2ELi3ELi16E21rocsparse_complex_numIdEEEv20rocsparse_direction_20rocsparse_operation_iiNS_24const_host_device_scalarIT3_EEPKiS9_PKS6_iiSB_lS7_PS6_l21rocsparse_index_base_b: ; @_ZN9rocsparseL29gebsrmm_small_blockdim_kernelILi3ELi2ELi3ELi16E21rocsparse_complex_numIdEEEv20rocsparse_direction_20rocsparse_operation_iiNS_24const_host_device_scalarIT3_EEPKiS9_PKS6_iiSB_lS7_PS6_l21rocsparse_index_base_b
; %bb.0:
	s_load_dwordx2 s[10:11], s[6:7], 0x70
	s_load_dwordx4 s[16:19], s[6:7], 0x10
	s_load_dwordx4 s[12:15], s[6:7], 0x48
	s_mov_b64 s[2:3], src_shared_base
	s_load_dwordx2 s[4:5], s[4:5], 0x4
	s_waitcnt lgkmcnt(0)
	s_bitcmp1_b32 s11, 0
	s_cselect_b64 s[0:1], -1, 0
	s_and_b64 vcc, s[0:1], exec
	s_cselect_b32 s2, s3, s17
	s_lshr_b32 s4, s4, 16
	v_bfe_u32 v1, v0, 10, 10
	v_and_b32_e32 v10, 0x3ff, v0
	s_mul_i32 s4, s4, s5
	v_mul_u32_u24_e32 v2, s5, v1
	v_mad_u32_u24 v2, s4, v10, v2
	v_bfe_u32 v0, v0, 20, 10
	v_add_lshl_u32 v0, v2, v0, 3
	v_mov_b32_e32 v6, s16
	v_add_u32_e32 v7, 0x510, v0
	v_pk_mov_b32 v[2:3], s[16:17], s[16:17] op_sel:[0,1]
	v_pk_mov_b32 v[4:5], s[14:15], s[14:15] op_sel:[0,1]
	ds_write2_b64 v0, v[4:5], v[2:3] offset0:114 offset1:162
	v_cndmask_b32_e64 v2, v6, v7, s[0:1]
	v_mov_b32_e32 v3, s2
	flat_load_dwordx2 v[8:9], v[2:3]
	s_load_dwordx2 s[4:5], s[6:7], 0x58
	s_xor_b64 s[20:21], s[0:1], -1
	v_add_u32_e32 v0, 0x390, v0
	v_pk_mov_b32 v[12:13], s[18:19], s[18:19] op_sel:[0,1]
	s_cbranch_vccnz .LBB43_2
; %bb.1:
	v_pk_mov_b32 v[2:3], s[16:17], s[16:17] op_sel:[0,1]
	flat_load_dwordx2 v[12:13], v[2:3] offset:8
.LBB43_2:
	s_and_b64 s[16:17], s[0:1], exec
	s_cselect_b32 s2, s3, s15
	v_mov_b32_e32 v2, s14
	v_cndmask_b32_e64 v2, v2, v0, s[0:1]
	v_mov_b32_e32 v3, s2
	flat_load_dwordx2 v[4:5], v[2:3]
	s_andn2_b64 vcc, exec, s[20:21]
	s_waitcnt lgkmcnt(0)
	v_pk_mov_b32 v[6:7], s[4:5], s[4:5] op_sel:[0,1]
	s_cbranch_vccnz .LBB43_4
; %bb.3:
	v_pk_mov_b32 v[2:3], s[14:15], s[14:15] op_sel:[0,1]
	flat_load_dwordx2 v[6:7], v[2:3] offset:8
.LBB43_4:
	s_waitcnt vmcnt(0)
	v_cmp_eq_f64_e32 vcc, 0, v[8:9]
	v_cmp_eq_f64_e64 s[0:1], 0, v[12:13]
	s_and_b64 s[4:5], vcc, s[0:1]
	s_mov_b64 s[0:1], -1
	s_and_saveexec_b64 s[2:3], s[4:5]
	s_cbranch_execz .LBB43_6
; %bb.5:
	v_cmp_neq_f64_e32 vcc, 1.0, v[4:5]
	s_waitcnt lgkmcnt(0)
	v_cmp_neq_f64_e64 s[0:1], 0, v[6:7]
	s_or_b64 s[0:1], vcc, s[0:1]
	s_orn2_b64 s[0:1], s[0:1], exec
.LBB43_6:
	s_or_b64 exec, exec, s[2:3]
	s_and_saveexec_b64 s[2:3], s[0:1]
	s_cbranch_execz .LBB43_26
; %bb.7:
	s_load_dwordx4 s[20:23], s[6:7], 0x0
	s_mov_b32 s26, 0
	s_mov_b32 s11, 0
	s_waitcnt lgkmcnt(0)
	s_cmp_lt_i32 s8, s22
	s_cselect_b64 s[24:25], -1, 0
	s_cmp_ge_i32 s8, s22
	s_cbranch_scc1 .LBB43_9
; %bb.8:
	s_load_dwordx2 s[2:3], s[6:7], 0x20
	s_mov_b32 s0, s9
	s_ashr_i32 s9, s8, 31
	s_lshl_b64 s[4:5], s[8:9], 2
	s_mov_b32 s9, s0
	s_waitcnt lgkmcnt(0)
	s_add_u32 s0, s2, s4
	s_addc_u32 s1, s3, s5
	s_load_dwordx2 s[0:1], s[0:1], 0x0
	s_waitcnt lgkmcnt(0)
	s_sub_i32 s26, s0, s10
	s_sub_i32 s11, s1, s10
.LBB43_9:
	s_load_dwordx2 s[14:15], s[6:7], 0x60
	v_lshl_add_u32 v14, s9, 4, v1
	v_pk_mov_b32 v[16:17], 0, 0
	v_ashrrev_i32_e32 v15, 31, v14
	v_cmp_gt_i32_e64 s[0:1], s23, v14
	v_cmp_gt_u32_e64 s[2:3], 3, v10
	s_cmp_ge_i32 s26, s11
	v_pk_mov_b32 v[18:19], v[16:17], v[16:17] op_sel:[0,1]
	s_cbranch_scc1 .LBB43_21
; %bb.10:
	s_load_dwordx4 s[16:19], s[6:7], 0x28
	s_load_dwordx2 s[4:5], s[6:7], 0x40
	v_cmp_lt_u32_e32 vcc, 1, v10
	s_xor_b64 s[22:23], s[0:1], -1
	s_or_b64 s[22:23], vcc, s[22:23]
	v_cmp_gt_u32_e32 vcc, 2, v1
	v_lshlrev_b64 v[2:3], 4, v[14:15]
	s_and_b64 s[28:29], s[2:3], vcc
	s_waitcnt lgkmcnt(0)
	v_mov_b32_e32 v0, s5
	v_add_co_u32_e32 v11, vcc, s4, v2
	v_addc_co_u32_e32 v20, vcc, v0, v3, vcc
	v_mul_lo_u32 v16, v15, s12
	v_mul_lo_u32 v17, v14, s13
	v_mad_u64_u32 v[2:3], s[30:31], v14, s12, 0
	v_add3_u32 v3, v3, v17, v16
	s_cmpk_lg_i32 s21, 0x6f
	v_lshlrev_b64 v[2:3], 4, v[2:3]
	s_cselect_b64 s[30:31], -1, 0
	v_add_co_u32_e32 v2, vcc, s4, v2
	s_cmp_eq_u32 s20, 0
	v_addc_co_u32_e32 v0, vcc, v0, v3, vcc
	v_lshlrev_b32_e32 v3, 4, v10
	s_cselect_b64 s[4:5], -1, 0
	s_ashr_i32 s27, s26, 31
	v_mul_u32_u24_e32 v16, 3, v1
	v_mad_u32_u24 v17, v1, 3, v10
	v_add_co_u32_e32 v22, vcc, v2, v3
	s_lshl_b64 s[20:21], s[26:27], 2
	s_mul_i32 s9, s26, 6
	v_lshlrev_b32_e32 v21, 4, v17
	v_addc_co_u32_e32 v23, vcc, 0, v0, vcc
	v_lshlrev_b32_e32 v0, 1, v10
	v_lshlrev_b32_e32 v26, 4, v16
	s_add_u32 s16, s16, s20
	v_add_u32_e32 v27, s9, v17
	v_pk_mov_b32 v[16:17], 0, 0
	v_add_u32_e32 v24, 0x300, v21
	v_add_u32_e32 v25, 0x300, v3
	s_addc_u32 s17, s17, s21
	v_add3_u32 v28, v1, s9, v0
	v_mov_b32_e32 v0, 0
	v_pk_mov_b32 v[18:19], v[16:17], v[16:17] op_sel:[0,1]
	s_branch .LBB43_12
.LBB43_11:                              ;   in Loop: Header=BB43_12 Depth=1
	s_or_b64 exec, exec, s[20:21]
	s_waitcnt lgkmcnt(0)
	; wave barrier
	s_waitcnt lgkmcnt(0)
	ds_read_b128 v[30:33], v26
	ds_read_b128 v[34:37], v25
	ds_read_b128 v[38:41], v25 offset:48
	ds_read_b128 v[42:45], v26 offset:16
	s_add_i32 s26, s26, 1
	s_add_u32 s16, s16, 4
	s_waitcnt lgkmcnt(2)
	v_fmac_f64_e32 v[18:19], v[34:35], v[30:31]
	v_fmac_f64_e32 v[16:17], v[36:37], v[30:31]
	v_fma_f64 v[2:3], -v[36:37], v[32:33], v[18:19]
	v_fmac_f64_e32 v[16:17], v[34:35], v[32:33]
	s_waitcnt lgkmcnt(0)
	v_fmac_f64_e32 v[2:3], v[38:39], v[42:43]
	v_fmac_f64_e32 v[16:17], v[40:41], v[42:43]
	s_addc_u32 s17, s17, 0
	v_fma_f64 v[18:19], -v[40:41], v[44:45], v[2:3]
	v_fmac_f64_e32 v[16:17], v[38:39], v[44:45]
	v_add_u32_e32 v27, 6, v27
	s_cmp_ge_i32 s26, s11
	v_add_u32_e32 v28, 6, v28
	s_waitcnt lgkmcnt(0)
	; wave barrier
	s_cbranch_scc1 .LBB43_21
.LBB43_12:                              ; =>This Inner Loop Header: Depth=1
	s_and_saveexec_b64 s[20:21], s[22:23]
	s_xor_b64 s[20:21], exec, s[20:21]
	s_cbranch_execz .LBB43_14
; %bb.13:                               ;   in Loop: Header=BB43_12 Depth=1
	v_mov_b32_e32 v1, v0
	v_mov_b32_e32 v2, v0
	v_mov_b32_e32 v3, v0
	ds_write_b128 v21, v[0:3]
.LBB43_14:                              ;   in Loop: Header=BB43_12 Depth=1
	s_andn2_saveexec_b64 s[20:21], s[20:21]
	s_cbranch_execz .LBB43_19
; %bb.15:                               ;   in Loop: Header=BB43_12 Depth=1
	s_load_dword s9, s[16:17], 0x0
	s_mov_b64 s[36:37], -1
	s_and_b64 vcc, exec, s[30:31]
	s_waitcnt lgkmcnt(0)
	s_sub_i32 s9, s9, s10
	s_lshl_b32 s34, s9, 1
	s_cbranch_vccz .LBB43_17
; %bb.16:                               ;   in Loop: Header=BB43_12 Depth=1
	v_or_b32_e32 v1, s34, v10
	s_ashr_i32 s9, s34, 31
	v_mul_lo_u32 v29, v1, s13
	s_mul_i32 s9, s9, s12
	v_mad_u64_u32 v[2:3], s[36:37], v1, s12, 0
	v_add3_u32 v3, v3, v29, s9
	v_lshlrev_b64 v[2:3], 4, v[2:3]
	v_add_co_u32_e32 v2, vcc, v11, v2
	v_addc_co_u32_e32 v3, vcc, v20, v3, vcc
	global_load_dwordx4 v[30:33], v[2:3], off
	s_mov_b64 s[36:37], 0
	s_waitcnt vmcnt(0)
	ds_write2_b64 v21, v[30:31], v[32:33] offset1:1
.LBB43_17:                              ;   in Loop: Header=BB43_12 Depth=1
	s_andn2_b64 vcc, exec, s[36:37]
	s_cbranch_vccnz .LBB43_19
; %bb.18:                               ;   in Loop: Header=BB43_12 Depth=1
	s_ashr_i32 s35, s34, 31
	s_lshl_b64 s[34:35], s[34:35], 4
	v_mov_b32_e32 v1, s35
	v_add_co_u32_e32 v2, vcc, s34, v22
	v_addc_co_u32_e32 v3, vcc, v23, v1, vcc
	global_load_dwordx4 v[30:33], v[2:3], off
	s_waitcnt vmcnt(0)
	ds_write2_b64 v21, v[30:31], v[32:33] offset1:1
.LBB43_19:                              ;   in Loop: Header=BB43_12 Depth=1
	s_or_b64 exec, exec, s[20:21]
	s_and_saveexec_b64 s[20:21], s[28:29]
	s_cbranch_execz .LBB43_11
; %bb.20:                               ;   in Loop: Header=BB43_12 Depth=1
	v_cndmask_b32_e64 v2, v27, v28, s[4:5]
	v_ashrrev_i32_e32 v3, 31, v2
	v_lshlrev_b64 v[2:3], 4, v[2:3]
	v_mov_b32_e32 v1, s19
	v_add_co_u32_e32 v2, vcc, s18, v2
	v_addc_co_u32_e32 v3, vcc, v1, v3, vcc
	global_load_dwordx4 v[30:33], v[2:3], off
	s_waitcnt vmcnt(0)
	ds_write2_b64 v24, v[30:31], v[32:33] offset1:1
	s_branch .LBB43_11
.LBB43_21:
	s_and_b64 s[0:1], s[2:3], s[0:1]
	s_and_b64 s[0:1], s[24:25], s[0:1]
	s_and_b64 exec, exec, s[0:1]
	s_cbranch_execz .LBB43_26
; %bb.22:
	s_load_dwordx2 s[0:1], s[6:7], 0x68
	v_mad_u64_u32 v[10:11], s[2:3], s8, 3, v[10:11]
	v_cmp_neq_f64_e32 vcc, 0, v[4:5]
	v_mul_f64 v[2:3], v[8:9], v[16:17]
	s_waitcnt lgkmcnt(0)
	v_mul_lo_u32 v0, v15, s0
	v_mul_lo_u32 v1, v14, s1
	v_mad_u64_u32 v[14:15], s[0:1], v14, s0, 0
	v_add3_u32 v15, v15, v1, v0
	v_cmp_neq_f64_e64 s[0:1], 0, v[6:7]
	v_mul_f64 v[0:1], v[16:17], -v[12:13]
	s_or_b64 s[0:1], vcc, s[0:1]
	v_ashrrev_i32_e32 v11, 31, v10
	v_lshlrev_b64 v[14:15], 4, v[14:15]
	v_fmac_f64_e32 v[0:1], v[8:9], v[18:19]
	v_fmac_f64_e32 v[2:3], v[12:13], v[18:19]
	s_and_saveexec_b64 s[2:3], s[0:1]
	s_xor_b64 s[0:1], exec, s[2:3]
	s_cbranch_execz .LBB43_24
; %bb.23:
	v_mov_b32_e32 v8, s15
	v_add_co_u32_e32 v12, vcc, s14, v14
	v_addc_co_u32_e32 v13, vcc, v8, v15, vcc
	v_lshlrev_b64 v[8:9], 4, v[10:11]
	v_add_co_u32_e32 v12, vcc, v12, v8
	v_addc_co_u32_e32 v13, vcc, v13, v9, vcc
	global_load_dwordx4 v[8:11], v[12:13], off
                                        ; implicit-def: $vgpr14_vgpr15
	s_waitcnt vmcnt(0)
	v_fmac_f64_e32 v[0:1], v[4:5], v[8:9]
	v_fmac_f64_e32 v[2:3], v[6:7], v[8:9]
	v_fma_f64 v[0:1], -v[6:7], v[10:11], v[0:1]
	v_fmac_f64_e32 v[2:3], v[4:5], v[10:11]
	global_store_dwordx4 v[12:13], v[0:3], off
                                        ; implicit-def: $vgpr0_vgpr1
                                        ; implicit-def: $vgpr10_vgpr11
.LBB43_24:
	s_andn2_saveexec_b64 s[0:1], s[0:1]
	s_cbranch_execz .LBB43_26
; %bb.25:
	v_mov_b32_e32 v4, s15
	v_add_co_u32_e32 v6, vcc, s14, v14
	v_addc_co_u32_e32 v7, vcc, v4, v15, vcc
	v_lshlrev_b64 v[4:5], 4, v[10:11]
	v_add_co_u32_e32 v4, vcc, v6, v4
	v_addc_co_u32_e32 v5, vcc, v7, v5, vcc
	global_store_dwordx4 v[4:5], v[0:3], off
.LBB43_26:
	s_endpgm
	.section	.rodata,"a",@progbits
	.p2align	6, 0x0
	.amdhsa_kernel _ZN9rocsparseL29gebsrmm_small_blockdim_kernelILi3ELi2ELi3ELi16E21rocsparse_complex_numIdEEEv20rocsparse_direction_20rocsparse_operation_iiNS_24const_host_device_scalarIT3_EEPKiS9_PKS6_iiSB_lS7_PS6_l21rocsparse_index_base_b
		.amdhsa_group_segment_fixed_size 1680
		.amdhsa_private_segment_fixed_size 0
		.amdhsa_kernarg_size 120
		.amdhsa_user_sgpr_count 8
		.amdhsa_user_sgpr_private_segment_buffer 1
		.amdhsa_user_sgpr_dispatch_ptr 1
		.amdhsa_user_sgpr_queue_ptr 0
		.amdhsa_user_sgpr_kernarg_segment_ptr 1
		.amdhsa_user_sgpr_dispatch_id 0
		.amdhsa_user_sgpr_flat_scratch_init 0
		.amdhsa_user_sgpr_kernarg_preload_length 0
		.amdhsa_user_sgpr_kernarg_preload_offset 0
		.amdhsa_user_sgpr_private_segment_size 0
		.amdhsa_uses_dynamic_stack 0
		.amdhsa_system_sgpr_private_segment_wavefront_offset 0
		.amdhsa_system_sgpr_workgroup_id_x 1
		.amdhsa_system_sgpr_workgroup_id_y 1
		.amdhsa_system_sgpr_workgroup_id_z 0
		.amdhsa_system_sgpr_workgroup_info 0
		.amdhsa_system_vgpr_workitem_id 2
		.amdhsa_next_free_vgpr 46
		.amdhsa_next_free_sgpr 38
		.amdhsa_accum_offset 48
		.amdhsa_reserve_vcc 1
		.amdhsa_reserve_flat_scratch 0
		.amdhsa_float_round_mode_32 0
		.amdhsa_float_round_mode_16_64 0
		.amdhsa_float_denorm_mode_32 3
		.amdhsa_float_denorm_mode_16_64 3
		.amdhsa_dx10_clamp 1
		.amdhsa_ieee_mode 1
		.amdhsa_fp16_overflow 0
		.amdhsa_tg_split 0
		.amdhsa_exception_fp_ieee_invalid_op 0
		.amdhsa_exception_fp_denorm_src 0
		.amdhsa_exception_fp_ieee_div_zero 0
		.amdhsa_exception_fp_ieee_overflow 0
		.amdhsa_exception_fp_ieee_underflow 0
		.amdhsa_exception_fp_ieee_inexact 0
		.amdhsa_exception_int_div_zero 0
	.end_amdhsa_kernel
	.section	.text._ZN9rocsparseL29gebsrmm_small_blockdim_kernelILi3ELi2ELi3ELi16E21rocsparse_complex_numIdEEEv20rocsparse_direction_20rocsparse_operation_iiNS_24const_host_device_scalarIT3_EEPKiS9_PKS6_iiSB_lS7_PS6_l21rocsparse_index_base_b,"axG",@progbits,_ZN9rocsparseL29gebsrmm_small_blockdim_kernelILi3ELi2ELi3ELi16E21rocsparse_complex_numIdEEEv20rocsparse_direction_20rocsparse_operation_iiNS_24const_host_device_scalarIT3_EEPKiS9_PKS6_iiSB_lS7_PS6_l21rocsparse_index_base_b,comdat
.Lfunc_end43:
	.size	_ZN9rocsparseL29gebsrmm_small_blockdim_kernelILi3ELi2ELi3ELi16E21rocsparse_complex_numIdEEEv20rocsparse_direction_20rocsparse_operation_iiNS_24const_host_device_scalarIT3_EEPKiS9_PKS6_iiSB_lS7_PS6_l21rocsparse_index_base_b, .Lfunc_end43-_ZN9rocsparseL29gebsrmm_small_blockdim_kernelILi3ELi2ELi3ELi16E21rocsparse_complex_numIdEEEv20rocsparse_direction_20rocsparse_operation_iiNS_24const_host_device_scalarIT3_EEPKiS9_PKS6_iiSB_lS7_PS6_l21rocsparse_index_base_b
                                        ; -- End function
	.section	.AMDGPU.csdata,"",@progbits
; Kernel info:
; codeLenInByte = 1368
; NumSgprs: 42
; NumVgprs: 46
; NumAgprs: 0
; TotalNumVgprs: 46
; ScratchSize: 0
; MemoryBound: 0
; FloatMode: 240
; IeeeMode: 1
; LDSByteSize: 1680 bytes/workgroup (compile time only)
; SGPRBlocks: 5
; VGPRBlocks: 5
; NumSGPRsForWavesPerEU: 42
; NumVGPRsForWavesPerEU: 46
; AccumOffset: 48
; Occupancy: 8
; WaveLimiterHint : 0
; COMPUTE_PGM_RSRC2:SCRATCH_EN: 0
; COMPUTE_PGM_RSRC2:USER_SGPR: 8
; COMPUTE_PGM_RSRC2:TRAP_HANDLER: 0
; COMPUTE_PGM_RSRC2:TGID_X_EN: 1
; COMPUTE_PGM_RSRC2:TGID_Y_EN: 1
; COMPUTE_PGM_RSRC2:TGID_Z_EN: 0
; COMPUTE_PGM_RSRC2:TIDIG_COMP_CNT: 2
; COMPUTE_PGM_RSRC3_GFX90A:ACCUM_OFFSET: 11
; COMPUTE_PGM_RSRC3_GFX90A:TG_SPLIT: 0
	.section	.text._ZN9rocsparseL29gebsrmm_small_blockdim_kernelILi3ELi4ELi4ELi16E21rocsparse_complex_numIdEEEv20rocsparse_direction_20rocsparse_operation_iiNS_24const_host_device_scalarIT3_EEPKiS9_PKS6_iiSB_lS7_PS6_l21rocsparse_index_base_b,"axG",@progbits,_ZN9rocsparseL29gebsrmm_small_blockdim_kernelILi3ELi4ELi4ELi16E21rocsparse_complex_numIdEEEv20rocsparse_direction_20rocsparse_operation_iiNS_24const_host_device_scalarIT3_EEPKiS9_PKS6_iiSB_lS7_PS6_l21rocsparse_index_base_b,comdat
	.globl	_ZN9rocsparseL29gebsrmm_small_blockdim_kernelILi3ELi4ELi4ELi16E21rocsparse_complex_numIdEEEv20rocsparse_direction_20rocsparse_operation_iiNS_24const_host_device_scalarIT3_EEPKiS9_PKS6_iiSB_lS7_PS6_l21rocsparse_index_base_b ; -- Begin function _ZN9rocsparseL29gebsrmm_small_blockdim_kernelILi3ELi4ELi4ELi16E21rocsparse_complex_numIdEEEv20rocsparse_direction_20rocsparse_operation_iiNS_24const_host_device_scalarIT3_EEPKiS9_PKS6_iiSB_lS7_PS6_l21rocsparse_index_base_b
	.p2align	8
	.type	_ZN9rocsparseL29gebsrmm_small_blockdim_kernelILi3ELi4ELi4ELi16E21rocsparse_complex_numIdEEEv20rocsparse_direction_20rocsparse_operation_iiNS_24const_host_device_scalarIT3_EEPKiS9_PKS6_iiSB_lS7_PS6_l21rocsparse_index_base_b,@function
_ZN9rocsparseL29gebsrmm_small_blockdim_kernelILi3ELi4ELi4ELi16E21rocsparse_complex_numIdEEEv20rocsparse_direction_20rocsparse_operation_iiNS_24const_host_device_scalarIT3_EEPKiS9_PKS6_iiSB_lS7_PS6_l21rocsparse_index_base_b: ; @_ZN9rocsparseL29gebsrmm_small_blockdim_kernelILi3ELi4ELi4ELi16E21rocsparse_complex_numIdEEEv20rocsparse_direction_20rocsparse_operation_iiNS_24const_host_device_scalarIT3_EEPKiS9_PKS6_iiSB_lS7_PS6_l21rocsparse_index_base_b
; %bb.0:
	s_add_u32 flat_scratch_lo, s8, s12
	s_addc_u32 flat_scratch_hi, s9, 0
	s_add_u32 s0, s0, s12
	s_load_dwordx2 s[24:25], s[6:7], 0x70
	s_load_dwordx4 s[12:15], s[6:7], 0x10
	s_load_dwordx4 s[16:19], s[6:7], 0x48
	s_load_dwordx2 s[20:21], s[4:5], 0x4
	s_addc_u32 s1, s1, 0
	s_waitcnt lgkmcnt(0)
	s_bitcmp1_b32 s25, 0
	s_cselect_b64 s[4:5], -1, 0
	s_mov_b64 s[8:9], src_shared_base
	s_and_b64 vcc, s[4:5], exec
	s_cselect_b32 s8, s9, s13
	s_lshr_b32 s9, s20, 16
	v_bfe_u32 v1, v0, 10, 10
	v_and_b32_e32 v8, 0x3ff, v0
	s_mul_i32 s9, s9, s21
	v_mul_u32_u24_e32 v2, s21, v1
	v_mad_u32_u24 v2, s9, v8, v2
	v_bfe_u32 v0, v0, 20, 10
	v_add_lshl_u32 v0, v2, v0, 3
	v_pk_mov_b32 v[2:3], s[12:13], s[12:13] op_sel:[0,1]
	v_add_u32_e32 v5, 0x500, v0
	ds_write_b64 v0, v[2:3] offset:1280
	v_mov_b32_e32 v0, s18
	v_mov_b32_e32 v4, s12
	buffer_store_dword v0, off, s[0:3], 0
	v_mov_b32_e32 v0, s19
	buffer_store_dword v0, off, s[0:3], 0 offset:4
	v_cndmask_b32_e64 v2, v4, v5, s[4:5]
	v_mov_b32_e32 v3, s8
	flat_load_dwordx2 v[10:11], v[2:3]
	s_load_dwordx2 s[8:9], s[6:7], 0x58
	s_xor_b64 s[20:21], s[4:5], -1
	v_pk_mov_b32 v[12:13], s[14:15], s[14:15] op_sel:[0,1]
	s_cbranch_vccnz .LBB44_2
; %bb.1:
	v_pk_mov_b32 v[2:3], s[12:13], s[12:13] op_sel:[0,1]
	flat_load_dwordx2 v[12:13], v[2:3] offset:8
.LBB44_2:
	s_mov_b64 s[12:13], src_private_base
	s_and_b64 s[14:15], s[4:5], exec
	s_cselect_b32 s12, s13, s19
	v_mov_b32_e32 v0, 0
	v_mov_b32_e32 v2, s18
	v_cndmask_b32_e64 v2, v2, v0, s[4:5]
	v_mov_b32_e32 v3, s12
	flat_load_dwordx2 v[4:5], v[2:3]
	s_andn2_b64 vcc, exec, s[20:21]
	s_waitcnt lgkmcnt(0)
	v_pk_mov_b32 v[6:7], s[8:9], s[8:9] op_sel:[0,1]
	s_cbranch_vccnz .LBB44_4
; %bb.3:
	v_pk_mov_b32 v[2:3], s[18:19], s[18:19] op_sel:[0,1]
	flat_load_dwordx2 v[6:7], v[2:3] offset:8
.LBB44_4:
	s_waitcnt vmcnt(0)
	v_cmp_eq_f64_e32 vcc, 0, v[10:11]
	v_cmp_eq_f64_e64 s[4:5], 0, v[12:13]
	s_and_b64 s[12:13], vcc, s[4:5]
	s_mov_b64 s[4:5], -1
	s_and_saveexec_b64 s[8:9], s[12:13]
	s_cbranch_execz .LBB44_6
; %bb.5:
	v_cmp_neq_f64_e32 vcc, 1.0, v[4:5]
	s_waitcnt lgkmcnt(0)
	v_cmp_neq_f64_e64 s[4:5], 0, v[6:7]
	s_or_b64 s[4:5], vcc, s[4:5]
	s_orn2_b64 s[4:5], s[4:5], exec
.LBB44_6:
	s_or_b64 exec, exec, s[8:9]
	s_and_saveexec_b64 s[8:9], s[4:5]
	s_cbranch_execz .LBB44_26
; %bb.7:
	s_load_dwordx4 s[12:15], s[6:7], 0x0
	s_mov_b32 s28, 0
	s_mov_b32 s25, 0
	s_waitcnt lgkmcnt(0)
	s_cmp_lt_i32 s10, s14
	s_cselect_b64 s[26:27], -1, 0
	s_cmp_ge_i32 s10, s14
	s_cbranch_scc1 .LBB44_9
; %bb.8:
	s_load_dwordx2 s[8:9], s[6:7], 0x20
	s_mov_b32 s4, s11
	s_ashr_i32 s11, s10, 31
	s_lshl_b64 s[18:19], s[10:11], 2
	s_mov_b32 s11, s4
	s_waitcnt lgkmcnt(0)
	s_add_u32 s4, s8, s18
	s_addc_u32 s5, s9, s19
	s_load_dwordx2 s[4:5], s[4:5], 0x0
	s_waitcnt lgkmcnt(0)
	s_sub_i32 s28, s4, s24
	s_sub_i32 s25, s5, s24
.LBB44_9:
	s_load_dwordx2 s[18:19], s[6:7], 0x60
	v_lshl_add_u32 v14, s11, 4, v1
	v_pk_mov_b32 v[16:17], 0, 0
	v_ashrrev_i32_e32 v15, 31, v14
	v_cmp_gt_i32_e64 s[4:5], s15, v14
	v_cmp_gt_u32_e64 s[8:9], 3, v8
	s_cmp_ge_i32 s28, s25
	v_pk_mov_b32 v[18:19], v[16:17], v[16:17] op_sel:[0,1]
	s_cbranch_scc1 .LBB44_21
; %bb.10:
	s_load_dwordx4 s[20:23], s[6:7], 0x28
	s_load_dwordx2 s[36:37], s[6:7], 0x40
	v_cmp_lt_u32_e32 vcc, 3, v8
	s_xor_b64 s[14:15], s[4:5], -1
	s_or_b64 s[14:15], vcc, s[14:15]
	v_cmp_gt_u32_e32 vcc, 4, v1
	v_lshlrev_b64 v[2:3], 4, v[14:15]
	s_and_b64 s[30:31], s[8:9], vcc
	s_waitcnt lgkmcnt(0)
	v_mov_b32_e32 v0, s37
	v_add_co_u32_e32 v9, vcc, s36, v2
	v_addc_co_u32_e32 v20, vcc, v0, v3, vcc
	v_mul_lo_u32 v16, v15, s16
	v_mul_lo_u32 v17, v14, s17
	v_mad_u64_u32 v[2:3], s[34:35], v14, s16, 0
	v_add3_u32 v3, v3, v17, v16
	s_cmpk_lg_i32 s13, 0x6f
	v_lshlrev_b64 v[2:3], 4, v[2:3]
	s_cselect_b64 s[34:35], -1, 0
	v_add_co_u32_e32 v2, vcc, s36, v2
	s_cmp_eq_u32 s12, 0
	v_addc_co_u32_e32 v0, vcc, v0, v3, vcc
	v_lshlrev_b32_e32 v3, 4, v8
	s_cselect_b64 s[12:13], -1, 0
	s_ashr_i32 s29, s28, 31
	v_lshlrev_b32_e32 v16, 2, v1
	v_add_co_u32_e32 v22, vcc, v2, v3
	s_lshl_b64 s[36:37], s[28:29], 2
	v_add_lshl_u32 v21, v16, v8, 4
	v_addc_co_u32_e32 v23, vcc, 0, v0, vcc
	v_lshlrev_b32_e32 v0, 2, v8
	s_add_u32 s20, s20, s36
	s_mul_i32 s11, s28, 12
	v_mul_u32_u24_e32 v2, 3, v1
	v_pk_mov_b32 v[16:17], 0, 0
	v_add_u32_e32 v24, 0x400, v21
	v_or_b32_e32 v25, 0x400, v3
	v_lshlrev_b32_e32 v26, 6, v1
	s_addc_u32 s21, s21, s37
	v_add3_u32 v27, v8, s11, v2
	v_add3_u32 v28, v1, s11, v0
	v_mov_b32_e32 v0, 0
	v_pk_mov_b32 v[18:19], v[16:17], v[16:17] op_sel:[0,1]
	s_branch .LBB44_12
.LBB44_11:                              ;   in Loop: Header=BB44_12 Depth=1
	s_or_b64 exec, exec, s[36:37]
	s_waitcnt lgkmcnt(0)
	; wave barrier
	s_waitcnt lgkmcnt(0)
	ds_read_b128 v[30:33], v25
	ds_read_b128 v[34:37], v26
	ds_read_b128 v[38:41], v26 offset:16
	ds_read_b128 v[42:45], v26 offset:32
	;; [unrolled: 1-line block ×4, first 2 shown]
	s_waitcnt lgkmcnt(4)
	v_fmac_f64_e32 v[18:19], v[30:31], v[34:35]
	v_fmac_f64_e32 v[16:17], v[32:33], v[34:35]
	v_fma_f64 v[2:3], -v[32:33], v[36:37], v[18:19]
	v_fmac_f64_e32 v[16:17], v[30:31], v[36:37]
	ds_read_b128 v[30:33], v25 offset:128
	ds_read_b128 v[34:37], v25 offset:192
	s_waitcnt lgkmcnt(2)
	v_fmac_f64_e32 v[2:3], v[50:51], v[38:39]
	v_fmac_f64_e32 v[16:17], v[52:53], v[38:39]
	v_fma_f64 v[2:3], -v[52:53], v[40:41], v[2:3]
	v_fmac_f64_e32 v[16:17], v[50:51], v[40:41]
	s_waitcnt lgkmcnt(1)
	v_fmac_f64_e32 v[2:3], v[30:31], v[42:43]
	v_fmac_f64_e32 v[16:17], v[32:33], v[42:43]
	s_add_i32 s28, s28, 1
	v_fma_f64 v[2:3], -v[32:33], v[44:45], v[2:3]
	v_fmac_f64_e32 v[16:17], v[30:31], v[44:45]
	s_add_u32 s20, s20, 4
	s_waitcnt lgkmcnt(0)
	v_fmac_f64_e32 v[2:3], v[34:35], v[46:47]
	v_fmac_f64_e32 v[16:17], v[36:37], v[46:47]
	s_addc_u32 s21, s21, 0
	v_fma_f64 v[18:19], -v[36:37], v[48:49], v[2:3]
	v_fmac_f64_e32 v[16:17], v[34:35], v[48:49]
	v_add_u32_e32 v27, 12, v27
	s_cmp_ge_i32 s28, s25
	v_add_u32_e32 v28, 12, v28
	s_waitcnt lgkmcnt(0)
	; wave barrier
	s_cbranch_scc1 .LBB44_21
.LBB44_12:                              ; =>This Inner Loop Header: Depth=1
	s_and_saveexec_b64 s[36:37], s[14:15]
	s_xor_b64 s[36:37], exec, s[36:37]
	s_cbranch_execz .LBB44_14
; %bb.13:                               ;   in Loop: Header=BB44_12 Depth=1
	v_mov_b32_e32 v1, v0
	v_mov_b32_e32 v2, v0
	;; [unrolled: 1-line block ×3, first 2 shown]
	ds_write_b128 v21, v[0:3]
.LBB44_14:                              ;   in Loop: Header=BB44_12 Depth=1
	s_andn2_saveexec_b64 s[36:37], s[36:37]
	s_cbranch_execz .LBB44_19
; %bb.15:                               ;   in Loop: Header=BB44_12 Depth=1
	s_load_dword s11, s[20:21], 0x0
	s_mov_b64 s[40:41], -1
	s_and_b64 vcc, exec, s[34:35]
	s_waitcnt lgkmcnt(0)
	s_sub_i32 s11, s11, s24
	s_lshl_b32 s38, s11, 2
	s_cbranch_vccz .LBB44_17
; %bb.16:                               ;   in Loop: Header=BB44_12 Depth=1
	v_or_b32_e32 v1, s38, v8
	s_ashr_i32 s11, s38, 31
	v_mul_lo_u32 v29, v1, s17
	s_mul_i32 s11, s11, s16
	v_mad_u64_u32 v[2:3], s[40:41], v1, s16, 0
	v_add3_u32 v3, v3, v29, s11
	v_lshlrev_b64 v[2:3], 4, v[2:3]
	v_add_co_u32_e32 v2, vcc, v9, v2
	v_addc_co_u32_e32 v3, vcc, v20, v3, vcc
	global_load_dwordx4 v[30:33], v[2:3], off
	s_mov_b64 s[40:41], 0
	s_waitcnt vmcnt(0)
	ds_write2_b64 v21, v[30:31], v[32:33] offset1:1
.LBB44_17:                              ;   in Loop: Header=BB44_12 Depth=1
	s_andn2_b64 vcc, exec, s[40:41]
	s_cbranch_vccnz .LBB44_19
; %bb.18:                               ;   in Loop: Header=BB44_12 Depth=1
	s_ashr_i32 s39, s38, 31
	s_lshl_b64 s[38:39], s[38:39], 4
	v_mov_b32_e32 v1, s39
	v_add_co_u32_e32 v2, vcc, s38, v22
	v_addc_co_u32_e32 v3, vcc, v23, v1, vcc
	global_load_dwordx4 v[30:33], v[2:3], off
	s_waitcnt vmcnt(0)
	ds_write2_b64 v21, v[30:31], v[32:33] offset1:1
.LBB44_19:                              ;   in Loop: Header=BB44_12 Depth=1
	s_or_b64 exec, exec, s[36:37]
	s_and_saveexec_b64 s[36:37], s[30:31]
	s_cbranch_execz .LBB44_11
; %bb.20:                               ;   in Loop: Header=BB44_12 Depth=1
	v_cndmask_b32_e64 v2, v27, v28, s[12:13]
	v_ashrrev_i32_e32 v3, 31, v2
	v_lshlrev_b64 v[2:3], 4, v[2:3]
	v_mov_b32_e32 v1, s23
	v_add_co_u32_e32 v2, vcc, s22, v2
	v_addc_co_u32_e32 v3, vcc, v1, v3, vcc
	global_load_dwordx4 v[30:33], v[2:3], off
	s_waitcnt vmcnt(0)
	ds_write2_b64 v24, v[30:31], v[32:33] offset1:1
	s_branch .LBB44_11
.LBB44_21:
	s_and_b64 s[4:5], s[8:9], s[4:5]
	s_and_b64 s[4:5], s[26:27], s[4:5]
	s_and_b64 exec, exec, s[4:5]
	s_cbranch_execz .LBB44_26
; %bb.22:
	s_load_dwordx2 s[4:5], s[6:7], 0x68
	v_mad_u64_u32 v[8:9], s[6:7], s10, 3, v[8:9]
	v_cmp_neq_f64_e32 vcc, 0, v[4:5]
	v_mul_f64 v[2:3], v[10:11], v[16:17]
	s_waitcnt lgkmcnt(0)
	v_mul_lo_u32 v0, v15, s4
	v_mul_lo_u32 v1, v14, s5
	v_mad_u64_u32 v[14:15], s[4:5], v14, s4, 0
	v_add3_u32 v15, v15, v1, v0
	v_cmp_neq_f64_e64 s[4:5], 0, v[6:7]
	v_mul_f64 v[0:1], v[16:17], -v[12:13]
	s_or_b64 s[4:5], vcc, s[4:5]
	v_ashrrev_i32_e32 v9, 31, v8
	v_lshlrev_b64 v[14:15], 4, v[14:15]
	v_fmac_f64_e32 v[0:1], v[10:11], v[18:19]
	v_fmac_f64_e32 v[2:3], v[12:13], v[18:19]
	s_and_saveexec_b64 s[6:7], s[4:5]
	s_xor_b64 s[4:5], exec, s[6:7]
	s_cbranch_execz .LBB44_24
; %bb.23:
	v_mov_b32_e32 v10, s19
	v_add_co_u32_e32 v11, vcc, s18, v14
	v_addc_co_u32_e32 v10, vcc, v10, v15, vcc
	v_lshlrev_b64 v[8:9], 4, v[8:9]
	v_add_co_u32_e32 v12, vcc, v11, v8
	v_addc_co_u32_e32 v13, vcc, v10, v9, vcc
	global_load_dwordx4 v[8:11], v[12:13], off
                                        ; implicit-def: $vgpr14_vgpr15
	s_waitcnt vmcnt(0)
	v_fmac_f64_e32 v[0:1], v[4:5], v[8:9]
	v_fmac_f64_e32 v[2:3], v[6:7], v[8:9]
	v_fma_f64 v[0:1], -v[6:7], v[10:11], v[0:1]
	v_fmac_f64_e32 v[2:3], v[4:5], v[10:11]
	global_store_dwordx4 v[12:13], v[0:3], off
                                        ; implicit-def: $vgpr0_vgpr1
                                        ; implicit-def: $vgpr8_vgpr9
.LBB44_24:
	s_andn2_saveexec_b64 s[4:5], s[4:5]
	s_cbranch_execz .LBB44_26
; %bb.25:
	v_mov_b32_e32 v4, s19
	v_add_co_u32_e32 v6, vcc, s18, v14
	v_addc_co_u32_e32 v7, vcc, v4, v15, vcc
	v_lshlrev_b64 v[4:5], 4, v[8:9]
	v_add_co_u32_e32 v4, vcc, v6, v4
	v_addc_co_u32_e32 v5, vcc, v7, v5, vcc
	global_store_dwordx4 v[4:5], v[0:3], off
.LBB44_26:
	s_endpgm
	.section	.rodata,"a",@progbits
	.p2align	6, 0x0
	.amdhsa_kernel _ZN9rocsparseL29gebsrmm_small_blockdim_kernelILi3ELi4ELi4ELi16E21rocsparse_complex_numIdEEEv20rocsparse_direction_20rocsparse_operation_iiNS_24const_host_device_scalarIT3_EEPKiS9_PKS6_iiSB_lS7_PS6_l21rocsparse_index_base_b
		.amdhsa_group_segment_fixed_size 1792
		.amdhsa_private_segment_fixed_size 16
		.amdhsa_kernarg_size 120
		.amdhsa_user_sgpr_count 10
		.amdhsa_user_sgpr_private_segment_buffer 1
		.amdhsa_user_sgpr_dispatch_ptr 1
		.amdhsa_user_sgpr_queue_ptr 0
		.amdhsa_user_sgpr_kernarg_segment_ptr 1
		.amdhsa_user_sgpr_dispatch_id 0
		.amdhsa_user_sgpr_flat_scratch_init 1
		.amdhsa_user_sgpr_kernarg_preload_length 0
		.amdhsa_user_sgpr_kernarg_preload_offset 0
		.amdhsa_user_sgpr_private_segment_size 0
		.amdhsa_uses_dynamic_stack 0
		.amdhsa_system_sgpr_private_segment_wavefront_offset 1
		.amdhsa_system_sgpr_workgroup_id_x 1
		.amdhsa_system_sgpr_workgroup_id_y 1
		.amdhsa_system_sgpr_workgroup_id_z 0
		.amdhsa_system_sgpr_workgroup_info 0
		.amdhsa_system_vgpr_workitem_id 2
		.amdhsa_next_free_vgpr 54
		.amdhsa_next_free_sgpr 42
		.amdhsa_accum_offset 56
		.amdhsa_reserve_vcc 1
		.amdhsa_reserve_flat_scratch 1
		.amdhsa_float_round_mode_32 0
		.amdhsa_float_round_mode_16_64 0
		.amdhsa_float_denorm_mode_32 3
		.amdhsa_float_denorm_mode_16_64 3
		.amdhsa_dx10_clamp 1
		.amdhsa_ieee_mode 1
		.amdhsa_fp16_overflow 0
		.amdhsa_tg_split 0
		.amdhsa_exception_fp_ieee_invalid_op 0
		.amdhsa_exception_fp_denorm_src 0
		.amdhsa_exception_fp_ieee_div_zero 0
		.amdhsa_exception_fp_ieee_overflow 0
		.amdhsa_exception_fp_ieee_underflow 0
		.amdhsa_exception_fp_ieee_inexact 0
		.amdhsa_exception_int_div_zero 0
	.end_amdhsa_kernel
	.section	.text._ZN9rocsparseL29gebsrmm_small_blockdim_kernelILi3ELi4ELi4ELi16E21rocsparse_complex_numIdEEEv20rocsparse_direction_20rocsparse_operation_iiNS_24const_host_device_scalarIT3_EEPKiS9_PKS6_iiSB_lS7_PS6_l21rocsparse_index_base_b,"axG",@progbits,_ZN9rocsparseL29gebsrmm_small_blockdim_kernelILi3ELi4ELi4ELi16E21rocsparse_complex_numIdEEEv20rocsparse_direction_20rocsparse_operation_iiNS_24const_host_device_scalarIT3_EEPKiS9_PKS6_iiSB_lS7_PS6_l21rocsparse_index_base_b,comdat
.Lfunc_end44:
	.size	_ZN9rocsparseL29gebsrmm_small_blockdim_kernelILi3ELi4ELi4ELi16E21rocsparse_complex_numIdEEEv20rocsparse_direction_20rocsparse_operation_iiNS_24const_host_device_scalarIT3_EEPKiS9_PKS6_iiSB_lS7_PS6_l21rocsparse_index_base_b, .Lfunc_end44-_ZN9rocsparseL29gebsrmm_small_blockdim_kernelILi3ELi4ELi4ELi16E21rocsparse_complex_numIdEEEv20rocsparse_direction_20rocsparse_operation_iiNS_24const_host_device_scalarIT3_EEPKiS9_PKS6_iiSB_lS7_PS6_l21rocsparse_index_base_b
                                        ; -- End function
	.section	.AMDGPU.csdata,"",@progbits
; Kernel info:
; codeLenInByte = 1484
; NumSgprs: 48
; NumVgprs: 54
; NumAgprs: 0
; TotalNumVgprs: 54
; ScratchSize: 16
; MemoryBound: 0
; FloatMode: 240
; IeeeMode: 1
; LDSByteSize: 1792 bytes/workgroup (compile time only)
; SGPRBlocks: 5
; VGPRBlocks: 6
; NumSGPRsForWavesPerEU: 48
; NumVGPRsForWavesPerEU: 54
; AccumOffset: 56
; Occupancy: 8
; WaveLimiterHint : 0
; COMPUTE_PGM_RSRC2:SCRATCH_EN: 1
; COMPUTE_PGM_RSRC2:USER_SGPR: 10
; COMPUTE_PGM_RSRC2:TRAP_HANDLER: 0
; COMPUTE_PGM_RSRC2:TGID_X_EN: 1
; COMPUTE_PGM_RSRC2:TGID_Y_EN: 1
; COMPUTE_PGM_RSRC2:TGID_Z_EN: 0
; COMPUTE_PGM_RSRC2:TIDIG_COMP_CNT: 2
; COMPUTE_PGM_RSRC3_GFX90A:ACCUM_OFFSET: 13
; COMPUTE_PGM_RSRC3_GFX90A:TG_SPLIT: 0
	.section	.text._ZN9rocsparseL29gebsrmm_small_blockdim_kernelILi4ELi1ELi4ELi16E21rocsparse_complex_numIdEEEv20rocsparse_direction_20rocsparse_operation_iiNS_24const_host_device_scalarIT3_EEPKiS9_PKS6_iiSB_lS7_PS6_l21rocsparse_index_base_b,"axG",@progbits,_ZN9rocsparseL29gebsrmm_small_blockdim_kernelILi4ELi1ELi4ELi16E21rocsparse_complex_numIdEEEv20rocsparse_direction_20rocsparse_operation_iiNS_24const_host_device_scalarIT3_EEPKiS9_PKS6_iiSB_lS7_PS6_l21rocsparse_index_base_b,comdat
	.globl	_ZN9rocsparseL29gebsrmm_small_blockdim_kernelILi4ELi1ELi4ELi16E21rocsparse_complex_numIdEEEv20rocsparse_direction_20rocsparse_operation_iiNS_24const_host_device_scalarIT3_EEPKiS9_PKS6_iiSB_lS7_PS6_l21rocsparse_index_base_b ; -- Begin function _ZN9rocsparseL29gebsrmm_small_blockdim_kernelILi4ELi1ELi4ELi16E21rocsparse_complex_numIdEEEv20rocsparse_direction_20rocsparse_operation_iiNS_24const_host_device_scalarIT3_EEPKiS9_PKS6_iiSB_lS7_PS6_l21rocsparse_index_base_b
	.p2align	8
	.type	_ZN9rocsparseL29gebsrmm_small_blockdim_kernelILi4ELi1ELi4ELi16E21rocsparse_complex_numIdEEEv20rocsparse_direction_20rocsparse_operation_iiNS_24const_host_device_scalarIT3_EEPKiS9_PKS6_iiSB_lS7_PS6_l21rocsparse_index_base_b,@function
_ZN9rocsparseL29gebsrmm_small_blockdim_kernelILi4ELi1ELi4ELi16E21rocsparse_complex_numIdEEEv20rocsparse_direction_20rocsparse_operation_iiNS_24const_host_device_scalarIT3_EEPKiS9_PKS6_iiSB_lS7_PS6_l21rocsparse_index_base_b: ; @_ZN9rocsparseL29gebsrmm_small_blockdim_kernelILi4ELi1ELi4ELi16E21rocsparse_complex_numIdEEEv20rocsparse_direction_20rocsparse_operation_iiNS_24const_host_device_scalarIT3_EEPKiS9_PKS6_iiSB_lS7_PS6_l21rocsparse_index_base_b
; %bb.0:
	s_add_u32 flat_scratch_lo, s8, s12
	s_addc_u32 flat_scratch_hi, s9, 0
	s_add_u32 s0, s0, s12
	s_load_dwordx2 s[24:25], s[6:7], 0x70
	s_load_dwordx4 s[16:19], s[6:7], 0x10
	s_load_dwordx4 s[12:15], s[6:7], 0x48
	s_load_dwordx2 s[20:21], s[4:5], 0x4
	s_addc_u32 s1, s1, 0
	s_waitcnt lgkmcnt(0)
	s_bitcmp1_b32 s25, 0
	s_cselect_b64 s[4:5], -1, 0
	s_mov_b64 s[8:9], src_shared_base
	s_and_b64 vcc, s[4:5], exec
	s_cselect_b32 s8, s9, s17
	s_lshr_b32 s9, s20, 16
	v_bfe_u32 v1, v0, 10, 10
	v_and_b32_e32 v20, 0x3ff, v0
	s_mul_i32 s9, s9, s21
	v_mul_u32_u24_e32 v2, s21, v1
	v_mad_u32_u24 v2, s9, v20, v2
	v_bfe_u32 v0, v0, 20, 10
	v_add_lshl_u32 v0, v2, v0, 3
	v_pk_mov_b32 v[2:3], s[16:17], s[16:17] op_sel:[0,1]
	v_add_u32_e32 v5, 0x500, v0
	ds_write_b64 v0, v[2:3] offset:1280
	v_mov_b32_e32 v0, s14
	v_mov_b32_e32 v4, s16
	buffer_store_dword v0, off, s[0:3], 0
	v_mov_b32_e32 v0, s15
	buffer_store_dword v0, off, s[0:3], 0 offset:4
	v_cndmask_b32_e64 v2, v4, v5, s[4:5]
	v_mov_b32_e32 v3, s8
	flat_load_dwordx2 v[8:9], v[2:3]
	s_load_dwordx2 s[8:9], s[6:7], 0x58
	s_xor_b64 s[20:21], s[4:5], -1
	v_pk_mov_b32 v[10:11], s[18:19], s[18:19] op_sel:[0,1]
	s_cbranch_vccnz .LBB45_2
; %bb.1:
	v_pk_mov_b32 v[2:3], s[16:17], s[16:17] op_sel:[0,1]
	flat_load_dwordx2 v[10:11], v[2:3] offset:8
.LBB45_2:
	s_mov_b64 s[16:17], src_private_base
	s_and_b64 s[18:19], s[4:5], exec
	s_cselect_b32 s16, s17, s15
	v_mov_b32_e32 v0, 0
	v_mov_b32_e32 v2, s14
	v_cndmask_b32_e64 v2, v2, v0, s[4:5]
	v_mov_b32_e32 v3, s16
	flat_load_dwordx2 v[4:5], v[2:3]
	s_andn2_b64 vcc, exec, s[20:21]
	s_waitcnt lgkmcnt(0)
	v_pk_mov_b32 v[6:7], s[8:9], s[8:9] op_sel:[0,1]
	s_cbranch_vccnz .LBB45_4
; %bb.3:
	v_pk_mov_b32 v[2:3], s[14:15], s[14:15] op_sel:[0,1]
	flat_load_dwordx2 v[6:7], v[2:3] offset:8
.LBB45_4:
	s_waitcnt vmcnt(0)
	v_cmp_eq_f64_e32 vcc, 0, v[8:9]
	v_cmp_eq_f64_e64 s[4:5], 0, v[10:11]
	s_and_b64 s[14:15], vcc, s[4:5]
	s_mov_b64 s[4:5], -1
	s_and_saveexec_b64 s[8:9], s[14:15]
	s_cbranch_execz .LBB45_6
; %bb.5:
	v_cmp_neq_f64_e32 vcc, 1.0, v[4:5]
	s_waitcnt lgkmcnt(0)
	v_cmp_neq_f64_e64 s[4:5], 0, v[6:7]
	s_or_b64 s[4:5], vcc, s[4:5]
	s_orn2_b64 s[4:5], s[4:5], exec
.LBB45_6:
	s_or_b64 exec, exec, s[8:9]
	s_and_saveexec_b64 s[8:9], s[4:5]
	s_cbranch_execz .LBB45_26
; %bb.7:
	s_load_dwordx4 s[20:23], s[6:7], 0x4
	s_mov_b32 s28, 0
	s_mov_b32 s25, 0
	s_waitcnt lgkmcnt(0)
	s_cmp_lt_i32 s10, s21
	s_cselect_b64 s[26:27], -1, 0
	s_cmp_ge_i32 s10, s21
	s_cbranch_scc1 .LBB45_9
; %bb.8:
	s_load_dwordx2 s[8:9], s[6:7], 0x20
	s_mov_b32 s4, s11
	s_ashr_i32 s11, s10, 31
	s_lshl_b64 s[14:15], s[10:11], 2
	s_mov_b32 s11, s4
	s_waitcnt lgkmcnt(0)
	s_add_u32 s4, s8, s14
	s_addc_u32 s5, s9, s15
	s_load_dwordx2 s[4:5], s[4:5], 0x0
	s_waitcnt lgkmcnt(0)
	s_sub_i32 s28, s4, s24
	s_sub_i32 s25, s5, s24
.LBB45_9:
	s_load_dwordx2 s[14:15], s[6:7], 0x60
	v_lshl_add_u32 v12, s11, 4, v1
	v_pk_mov_b32 v[14:15], 0, 0
	v_ashrrev_i32_e32 v13, 31, v12
	v_cmp_gt_i32_e64 s[4:5], s22, v12
	v_cmp_gt_u32_e64 s[8:9], 4, v20
	s_cmp_ge_i32 s28, s25
	v_pk_mov_b32 v[16:17], v[14:15], v[14:15] op_sel:[0,1]
	s_cbranch_scc1 .LBB45_21
; %bb.10:
	s_load_dwordx4 s[16:19], s[6:7], 0x28
	s_load_dwordx2 s[34:35], s[6:7], 0x40
	v_cmp_ne_u32_e32 vcc, 0, v20
	s_xor_b64 s[22:23], s[4:5], -1
	s_or_b64 s[22:23], vcc, s[22:23]
	v_cmp_eq_u32_e32 vcc, 0, v1
	v_lshlrev_b64 v[2:3], 4, v[12:13]
	s_and_b64 s[30:31], s[8:9], vcc
	s_waitcnt lgkmcnt(0)
	v_mov_b32_e32 v0, s35
	v_add_co_u32_e32 v21, vcc, s34, v2
	v_addc_co_u32_e32 v22, vcc, v0, v3, vcc
	v_mul_lo_u32 v14, v13, s12
	v_mul_lo_u32 v15, v12, s13
	v_mad_u64_u32 v[2:3], s[36:37], v12, s12, 0
	v_add3_u32 v3, v3, v15, v14
	s_cmpk_lg_i32 s20, 0x6f
	s_cselect_b64 s[20:21], -1, 0
	v_lshlrev_b64 v[2:3], 4, v[2:3]
	s_ashr_i32 s29, s28, 31
	v_lshlrev_b32_e32 v14, 2, v1
	v_add_co_u32_e32 v24, vcc, s34, v2
	s_lshl_b64 s[34:35], s[28:29], 2
	v_add_lshl_u32 v23, v14, v20, 4
	v_addc_co_u32_e32 v25, vcc, v0, v3, vcc
	v_mov_b32_e32 v0, 0x400
	s_add_u32 s16, s16, s34
	v_pk_mov_b32 v[14:15], 0, 0
	v_add_u32_e32 v26, 0x400, v23
	v_lshl_or_b32 v27, v20, 4, v0
	v_lshlrev_b32_e32 v28, 6, v1
	s_addc_u32 s17, s17, s35
	v_lshl_add_u32 v18, s28, 2, v20
	v_mov_b32_e32 v0, 0
	v_pk_mov_b32 v[16:17], v[14:15], v[14:15] op_sel:[0,1]
	s_branch .LBB45_12
.LBB45_11:                              ;   in Loop: Header=BB45_12 Depth=1
	s_or_b64 exec, exec, s[34:35]
	s_waitcnt lgkmcnt(0)
	; wave barrier
	s_waitcnt lgkmcnt(0)
	ds_read_b128 v[30:33], v27
	ds_read_b128 v[34:37], v28
	s_add_i32 s28, s28, 1
	s_add_u32 s16, s16, 4
	s_addc_u32 s17, s17, 0
	s_cmp_ge_i32 s28, s25
	s_waitcnt lgkmcnt(0)
	v_fmac_f64_e32 v[16:17], v[30:31], v[34:35]
	v_fmac_f64_e32 v[14:15], v[32:33], v[34:35]
	v_fma_f64 v[16:17], -v[32:33], v[36:37], v[16:17]
	v_fmac_f64_e32 v[14:15], v[30:31], v[36:37]
	v_add_u32_e32 v18, 4, v18
	s_waitcnt lgkmcnt(0)
	; wave barrier
	s_cbranch_scc1 .LBB45_21
.LBB45_12:                              ; =>This Inner Loop Header: Depth=1
	s_and_saveexec_b64 s[34:35], s[22:23]
	s_xor_b64 s[34:35], exec, s[34:35]
	s_cbranch_execz .LBB45_14
; %bb.13:                               ;   in Loop: Header=BB45_12 Depth=1
	v_mov_b32_e32 v1, v0
	v_mov_b32_e32 v2, v0
	;; [unrolled: 1-line block ×3, first 2 shown]
	ds_write_b128 v23, v[0:3]
.LBB45_14:                              ;   in Loop: Header=BB45_12 Depth=1
	s_andn2_saveexec_b64 s[34:35], s[34:35]
	s_cbranch_execz .LBB45_19
; %bb.15:                               ;   in Loop: Header=BB45_12 Depth=1
	s_load_dword s11, s[16:17], 0x0
	s_mov_b64 s[38:39], -1
	s_and_b64 vcc, exec, s[20:21]
	s_waitcnt lgkmcnt(0)
	s_sub_i32 s36, s11, s24
	s_ashr_i32 s37, s36, 31
	s_cbranch_vccz .LBB45_17
; %bb.16:                               ;   in Loop: Header=BB45_12 Depth=1
	s_mul_i32 s11, s36, s13
	s_mul_hi_u32 s29, s36, s12
	s_add_i32 s11, s29, s11
	s_mul_i32 s29, s37, s12
	s_add_i32 s39, s11, s29
	s_mul_i32 s38, s36, s12
	s_lshl_b64 s[38:39], s[38:39], 4
	v_mov_b32_e32 v1, s39
	v_add_co_u32_e32 v2, vcc, s38, v21
	v_addc_co_u32_e32 v3, vcc, v22, v1, vcc
	global_load_dwordx4 v[30:33], v[2:3], off
	s_mov_b64 s[38:39], 0
	s_waitcnt vmcnt(0)
	ds_write2_b64 v23, v[30:31], v[32:33] offset1:1
.LBB45_17:                              ;   in Loop: Header=BB45_12 Depth=1
	s_andn2_b64 vcc, exec, s[38:39]
	s_cbranch_vccnz .LBB45_19
; %bb.18:                               ;   in Loop: Header=BB45_12 Depth=1
	s_lshl_b64 s[36:37], s[36:37], 4
	v_mov_b32_e32 v1, s37
	v_add_co_u32_e32 v2, vcc, s36, v24
	v_addc_co_u32_e32 v3, vcc, v25, v1, vcc
	global_load_dwordx4 v[30:33], v[2:3], off
	s_waitcnt vmcnt(0)
	ds_write2_b64 v23, v[30:31], v[32:33] offset1:1
.LBB45_19:                              ;   in Loop: Header=BB45_12 Depth=1
	s_or_b64 exec, exec, s[34:35]
	s_and_saveexec_b64 s[34:35], s[30:31]
	s_cbranch_execz .LBB45_11
; %bb.20:                               ;   in Loop: Header=BB45_12 Depth=1
	v_ashrrev_i32_e32 v19, 31, v18
	v_lshlrev_b64 v[2:3], 4, v[18:19]
	v_mov_b32_e32 v1, s19
	v_add_co_u32_e32 v2, vcc, s18, v2
	v_addc_co_u32_e32 v3, vcc, v1, v3, vcc
	global_load_dwordx4 v[30:33], v[2:3], off
	s_waitcnt vmcnt(0)
	ds_write2_b64 v26, v[30:31], v[32:33] offset1:1
	s_branch .LBB45_11
.LBB45_21:
	s_and_b64 s[4:5], s[8:9], s[4:5]
	s_and_b64 s[4:5], s[26:27], s[4:5]
	s_and_b64 exec, exec, s[4:5]
	s_cbranch_execz .LBB45_26
; %bb.22:
	s_load_dwordx2 s[4:5], s[6:7], 0x68
	v_lshl_add_u32 v18, s10, 2, v20
	v_cmp_neq_f64_e32 vcc, 0, v[4:5]
	v_mul_f64 v[2:3], v[8:9], v[14:15]
	v_ashrrev_i32_e32 v19, 31, v18
	s_waitcnt lgkmcnt(0)
	v_mul_lo_u32 v0, v13, s4
	v_mul_lo_u32 v1, v12, s5
	v_mad_u64_u32 v[12:13], s[4:5], v12, s4, 0
	v_add3_u32 v13, v13, v1, v0
	v_cmp_neq_f64_e64 s[4:5], 0, v[6:7]
	v_mul_f64 v[0:1], v[14:15], -v[10:11]
	s_or_b64 s[4:5], vcc, s[4:5]
	v_lshlrev_b64 v[12:13], 4, v[12:13]
	v_fmac_f64_e32 v[0:1], v[8:9], v[16:17]
	v_fmac_f64_e32 v[2:3], v[10:11], v[16:17]
	s_and_saveexec_b64 s[6:7], s[4:5]
	s_xor_b64 s[4:5], exec, s[6:7]
	s_cbranch_execz .LBB45_24
; %bb.23:
	v_mov_b32_e32 v8, s15
	v_add_co_u32_e32 v10, vcc, s14, v12
	v_addc_co_u32_e32 v11, vcc, v8, v13, vcc
	v_lshlrev_b64 v[8:9], 4, v[18:19]
	v_add_co_u32_e32 v12, vcc, v10, v8
	v_addc_co_u32_e32 v13, vcc, v11, v9, vcc
	global_load_dwordx4 v[8:11], v[12:13], off
                                        ; implicit-def: $vgpr18
	s_waitcnt vmcnt(0)
	v_fmac_f64_e32 v[0:1], v[4:5], v[8:9]
	v_fmac_f64_e32 v[2:3], v[6:7], v[8:9]
	v_fma_f64 v[0:1], -v[6:7], v[10:11], v[0:1]
	v_fmac_f64_e32 v[2:3], v[4:5], v[10:11]
	global_store_dwordx4 v[12:13], v[0:3], off
                                        ; implicit-def: $vgpr0_vgpr1
                                        ; implicit-def: $vgpr12_vgpr13
.LBB45_24:
	s_andn2_saveexec_b64 s[4:5], s[4:5]
	s_cbranch_execz .LBB45_26
; %bb.25:
	v_mov_b32_e32 v4, s15
	v_add_co_u32_e32 v6, vcc, s14, v12
	v_addc_co_u32_e32 v7, vcc, v4, v13, vcc
	v_lshlrev_b64 v[4:5], 4, v[18:19]
	v_add_co_u32_e32 v4, vcc, v6, v4
	v_addc_co_u32_e32 v5, vcc, v7, v5, vcc
	global_store_dwordx4 v[4:5], v[0:3], off
.LBB45_26:
	s_endpgm
	.section	.rodata,"a",@progbits
	.p2align	6, 0x0
	.amdhsa_kernel _ZN9rocsparseL29gebsrmm_small_blockdim_kernelILi4ELi1ELi4ELi16E21rocsparse_complex_numIdEEEv20rocsparse_direction_20rocsparse_operation_iiNS_24const_host_device_scalarIT3_EEPKiS9_PKS6_iiSB_lS7_PS6_l21rocsparse_index_base_b
		.amdhsa_group_segment_fixed_size 1792
		.amdhsa_private_segment_fixed_size 16
		.amdhsa_kernarg_size 120
		.amdhsa_user_sgpr_count 10
		.amdhsa_user_sgpr_private_segment_buffer 1
		.amdhsa_user_sgpr_dispatch_ptr 1
		.amdhsa_user_sgpr_queue_ptr 0
		.amdhsa_user_sgpr_kernarg_segment_ptr 1
		.amdhsa_user_sgpr_dispatch_id 0
		.amdhsa_user_sgpr_flat_scratch_init 1
		.amdhsa_user_sgpr_kernarg_preload_length 0
		.amdhsa_user_sgpr_kernarg_preload_offset 0
		.amdhsa_user_sgpr_private_segment_size 0
		.amdhsa_uses_dynamic_stack 0
		.amdhsa_system_sgpr_private_segment_wavefront_offset 1
		.amdhsa_system_sgpr_workgroup_id_x 1
		.amdhsa_system_sgpr_workgroup_id_y 1
		.amdhsa_system_sgpr_workgroup_id_z 0
		.amdhsa_system_sgpr_workgroup_info 0
		.amdhsa_system_vgpr_workitem_id 2
		.amdhsa_next_free_vgpr 38
		.amdhsa_next_free_sgpr 40
		.amdhsa_accum_offset 40
		.amdhsa_reserve_vcc 1
		.amdhsa_reserve_flat_scratch 1
		.amdhsa_float_round_mode_32 0
		.amdhsa_float_round_mode_16_64 0
		.amdhsa_float_denorm_mode_32 3
		.amdhsa_float_denorm_mode_16_64 3
		.amdhsa_dx10_clamp 1
		.amdhsa_ieee_mode 1
		.amdhsa_fp16_overflow 0
		.amdhsa_tg_split 0
		.amdhsa_exception_fp_ieee_invalid_op 0
		.amdhsa_exception_fp_denorm_src 0
		.amdhsa_exception_fp_ieee_div_zero 0
		.amdhsa_exception_fp_ieee_overflow 0
		.amdhsa_exception_fp_ieee_underflow 0
		.amdhsa_exception_fp_ieee_inexact 0
		.amdhsa_exception_int_div_zero 0
	.end_amdhsa_kernel
	.section	.text._ZN9rocsparseL29gebsrmm_small_blockdim_kernelILi4ELi1ELi4ELi16E21rocsparse_complex_numIdEEEv20rocsparse_direction_20rocsparse_operation_iiNS_24const_host_device_scalarIT3_EEPKiS9_PKS6_iiSB_lS7_PS6_l21rocsparse_index_base_b,"axG",@progbits,_ZN9rocsparseL29gebsrmm_small_blockdim_kernelILi4ELi1ELi4ELi16E21rocsparse_complex_numIdEEEv20rocsparse_direction_20rocsparse_operation_iiNS_24const_host_device_scalarIT3_EEPKiS9_PKS6_iiSB_lS7_PS6_l21rocsparse_index_base_b,comdat
.Lfunc_end45:
	.size	_ZN9rocsparseL29gebsrmm_small_blockdim_kernelILi4ELi1ELi4ELi16E21rocsparse_complex_numIdEEEv20rocsparse_direction_20rocsparse_operation_iiNS_24const_host_device_scalarIT3_EEPKiS9_PKS6_iiSB_lS7_PS6_l21rocsparse_index_base_b, .Lfunc_end45-_ZN9rocsparseL29gebsrmm_small_blockdim_kernelILi4ELi1ELi4ELi16E21rocsparse_complex_numIdEEEv20rocsparse_direction_20rocsparse_operation_iiNS_24const_host_device_scalarIT3_EEPKiS9_PKS6_iiSB_lS7_PS6_l21rocsparse_index_base_b
                                        ; -- End function
	.section	.AMDGPU.csdata,"",@progbits
; Kernel info:
; codeLenInByte = 1304
; NumSgprs: 46
; NumVgprs: 38
; NumAgprs: 0
; TotalNumVgprs: 38
; ScratchSize: 16
; MemoryBound: 0
; FloatMode: 240
; IeeeMode: 1
; LDSByteSize: 1792 bytes/workgroup (compile time only)
; SGPRBlocks: 5
; VGPRBlocks: 4
; NumSGPRsForWavesPerEU: 46
; NumVGPRsForWavesPerEU: 38
; AccumOffset: 40
; Occupancy: 8
; WaveLimiterHint : 0
; COMPUTE_PGM_RSRC2:SCRATCH_EN: 1
; COMPUTE_PGM_RSRC2:USER_SGPR: 10
; COMPUTE_PGM_RSRC2:TRAP_HANDLER: 0
; COMPUTE_PGM_RSRC2:TGID_X_EN: 1
; COMPUTE_PGM_RSRC2:TGID_Y_EN: 1
; COMPUTE_PGM_RSRC2:TGID_Z_EN: 0
; COMPUTE_PGM_RSRC2:TIDIG_COMP_CNT: 2
; COMPUTE_PGM_RSRC3_GFX90A:ACCUM_OFFSET: 9
; COMPUTE_PGM_RSRC3_GFX90A:TG_SPLIT: 0
	.section	.text._ZN9rocsparseL29gebsrmm_small_blockdim_kernelILi4ELi2ELi4ELi16E21rocsparse_complex_numIdEEEv20rocsparse_direction_20rocsparse_operation_iiNS_24const_host_device_scalarIT3_EEPKiS9_PKS6_iiSB_lS7_PS6_l21rocsparse_index_base_b,"axG",@progbits,_ZN9rocsparseL29gebsrmm_small_blockdim_kernelILi4ELi2ELi4ELi16E21rocsparse_complex_numIdEEEv20rocsparse_direction_20rocsparse_operation_iiNS_24const_host_device_scalarIT3_EEPKiS9_PKS6_iiSB_lS7_PS6_l21rocsparse_index_base_b,comdat
	.globl	_ZN9rocsparseL29gebsrmm_small_blockdim_kernelILi4ELi2ELi4ELi16E21rocsparse_complex_numIdEEEv20rocsparse_direction_20rocsparse_operation_iiNS_24const_host_device_scalarIT3_EEPKiS9_PKS6_iiSB_lS7_PS6_l21rocsparse_index_base_b ; -- Begin function _ZN9rocsparseL29gebsrmm_small_blockdim_kernelILi4ELi2ELi4ELi16E21rocsparse_complex_numIdEEEv20rocsparse_direction_20rocsparse_operation_iiNS_24const_host_device_scalarIT3_EEPKiS9_PKS6_iiSB_lS7_PS6_l21rocsparse_index_base_b
	.p2align	8
	.type	_ZN9rocsparseL29gebsrmm_small_blockdim_kernelILi4ELi2ELi4ELi16E21rocsparse_complex_numIdEEEv20rocsparse_direction_20rocsparse_operation_iiNS_24const_host_device_scalarIT3_EEPKiS9_PKS6_iiSB_lS7_PS6_l21rocsparse_index_base_b,@function
_ZN9rocsparseL29gebsrmm_small_blockdim_kernelILi4ELi2ELi4ELi16E21rocsparse_complex_numIdEEEv20rocsparse_direction_20rocsparse_operation_iiNS_24const_host_device_scalarIT3_EEPKiS9_PKS6_iiSB_lS7_PS6_l21rocsparse_index_base_b: ; @_ZN9rocsparseL29gebsrmm_small_blockdim_kernelILi4ELi2ELi4ELi16E21rocsparse_complex_numIdEEEv20rocsparse_direction_20rocsparse_operation_iiNS_24const_host_device_scalarIT3_EEPKiS9_PKS6_iiSB_lS7_PS6_l21rocsparse_index_base_b
; %bb.0:
	s_add_u32 flat_scratch_lo, s8, s12
	s_addc_u32 flat_scratch_hi, s9, 0
	s_add_u32 s0, s0, s12
	s_load_dwordx2 s[24:25], s[6:7], 0x70
	s_load_dwordx4 s[16:19], s[6:7], 0x10
	s_load_dwordx4 s[12:15], s[6:7], 0x48
	s_load_dwordx2 s[20:21], s[4:5], 0x4
	s_addc_u32 s1, s1, 0
	s_waitcnt lgkmcnt(0)
	s_bitcmp1_b32 s25, 0
	s_cselect_b64 s[4:5], -1, 0
	s_mov_b64 s[8:9], src_shared_base
	s_and_b64 vcc, s[4:5], exec
	s_cselect_b32 s8, s9, s17
	s_lshr_b32 s9, s20, 16
	v_bfe_u32 v1, v0, 10, 10
	v_and_b32_e32 v20, 0x3ff, v0
	s_mul_i32 s9, s9, s21
	v_mul_u32_u24_e32 v2, s21, v1
	v_mad_u32_u24 v2, s9, v20, v2
	v_bfe_u32 v0, v0, 20, 10
	v_add_lshl_u32 v0, v2, v0, 3
	v_pk_mov_b32 v[2:3], s[16:17], s[16:17] op_sel:[0,1]
	v_add_u32_e32 v5, 0x500, v0
	ds_write_b64 v0, v[2:3] offset:1280
	v_mov_b32_e32 v0, s14
	v_mov_b32_e32 v4, s16
	buffer_store_dword v0, off, s[0:3], 0
	v_mov_b32_e32 v0, s15
	buffer_store_dword v0, off, s[0:3], 0 offset:4
	v_cndmask_b32_e64 v2, v4, v5, s[4:5]
	v_mov_b32_e32 v3, s8
	flat_load_dwordx2 v[8:9], v[2:3]
	s_load_dwordx2 s[8:9], s[6:7], 0x58
	s_xor_b64 s[20:21], s[4:5], -1
	v_pk_mov_b32 v[10:11], s[18:19], s[18:19] op_sel:[0,1]
	s_cbranch_vccnz .LBB46_2
; %bb.1:
	v_pk_mov_b32 v[2:3], s[16:17], s[16:17] op_sel:[0,1]
	flat_load_dwordx2 v[10:11], v[2:3] offset:8
.LBB46_2:
	s_mov_b64 s[16:17], src_private_base
	s_and_b64 s[18:19], s[4:5], exec
	s_cselect_b32 s16, s17, s15
	v_mov_b32_e32 v0, 0
	v_mov_b32_e32 v2, s14
	v_cndmask_b32_e64 v2, v2, v0, s[4:5]
	v_mov_b32_e32 v3, s16
	flat_load_dwordx2 v[4:5], v[2:3]
	s_andn2_b64 vcc, exec, s[20:21]
	s_waitcnt lgkmcnt(0)
	v_pk_mov_b32 v[6:7], s[8:9], s[8:9] op_sel:[0,1]
	s_cbranch_vccnz .LBB46_4
; %bb.3:
	v_pk_mov_b32 v[2:3], s[14:15], s[14:15] op_sel:[0,1]
	flat_load_dwordx2 v[6:7], v[2:3] offset:8
.LBB46_4:
	s_waitcnt vmcnt(0)
	v_cmp_eq_f64_e32 vcc, 0, v[8:9]
	v_cmp_eq_f64_e64 s[4:5], 0, v[10:11]
	s_and_b64 s[14:15], vcc, s[4:5]
	s_mov_b64 s[4:5], -1
	s_and_saveexec_b64 s[8:9], s[14:15]
	s_cbranch_execz .LBB46_6
; %bb.5:
	v_cmp_neq_f64_e32 vcc, 1.0, v[4:5]
	s_waitcnt lgkmcnt(0)
	v_cmp_neq_f64_e64 s[4:5], 0, v[6:7]
	s_or_b64 s[4:5], vcc, s[4:5]
	s_orn2_b64 s[4:5], s[4:5], exec
.LBB46_6:
	s_or_b64 exec, exec, s[8:9]
	s_and_saveexec_b64 s[8:9], s[4:5]
	s_cbranch_execz .LBB46_26
; %bb.7:
	s_load_dwordx4 s[20:23], s[6:7], 0x0
	s_mov_b32 s28, 0
	s_mov_b32 s25, 0
	s_waitcnt lgkmcnt(0)
	s_cmp_lt_i32 s10, s22
	s_cselect_b64 s[26:27], -1, 0
	s_cmp_ge_i32 s10, s22
	s_cbranch_scc1 .LBB46_9
; %bb.8:
	s_load_dwordx2 s[8:9], s[6:7], 0x20
	s_mov_b32 s4, s11
	s_ashr_i32 s11, s10, 31
	s_lshl_b64 s[14:15], s[10:11], 2
	s_mov_b32 s11, s4
	s_waitcnt lgkmcnt(0)
	s_add_u32 s4, s8, s14
	s_addc_u32 s5, s9, s15
	s_load_dwordx2 s[4:5], s[4:5], 0x0
	s_waitcnt lgkmcnt(0)
	s_sub_i32 s28, s4, s24
	s_sub_i32 s25, s5, s24
.LBB46_9:
	s_load_dwordx2 s[14:15], s[6:7], 0x60
	v_lshl_add_u32 v12, s11, 4, v1
	v_pk_mov_b32 v[14:15], 0, 0
	v_ashrrev_i32_e32 v13, 31, v12
	v_cmp_gt_i32_e64 s[4:5], s23, v12
	v_cmp_gt_u32_e64 s[8:9], 4, v20
	s_cmp_ge_i32 s28, s25
	v_pk_mov_b32 v[16:17], v[14:15], v[14:15] op_sel:[0,1]
	s_cbranch_scc1 .LBB46_21
; %bb.10:
	s_load_dwordx4 s[16:19], s[6:7], 0x28
	s_load_dwordx2 s[36:37], s[6:7], 0x40
	v_cmp_lt_u32_e32 vcc, 1, v20
	s_xor_b64 s[22:23], s[4:5], -1
	s_or_b64 s[22:23], vcc, s[22:23]
	v_cmp_gt_u32_e32 vcc, 2, v1
	v_lshlrev_b64 v[2:3], 4, v[12:13]
	s_and_b64 s[30:31], s[8:9], vcc
	s_waitcnt lgkmcnt(0)
	v_mov_b32_e32 v0, s37
	v_add_co_u32_e32 v21, vcc, s36, v2
	v_addc_co_u32_e32 v22, vcc, v0, v3, vcc
	v_mul_lo_u32 v14, v13, s12
	v_mul_lo_u32 v15, v12, s13
	v_mad_u64_u32 v[2:3], s[34:35], v12, s12, 0
	v_add3_u32 v3, v3, v15, v14
	v_lshlrev_b64 v[2:3], 4, v[2:3]
	v_add_co_u32_e32 v2, vcc, s36, v2
	v_addc_co_u32_e32 v0, vcc, v0, v3, vcc
	v_lshlrev_b32_e32 v3, 4, v20
	s_cmpk_lg_i32 s21, 0x6f
	v_add_co_u32_e32 v24, vcc, v2, v3
	s_cselect_b64 s[34:35], -1, 0
	v_addc_co_u32_e32 v25, vcc, 0, v0, vcc
	s_cmp_eq_u32 s20, 0
	s_cselect_b64 vcc, -1, 0
	s_ashr_i32 s29, s28, 31
	s_lshl_b64 s[20:21], s[28:29], 2
	v_lshlrev_b32_e32 v14, 2, v1
	v_lshlrev_b32_e32 v0, 1, v20
	s_add_u32 s16, s16, s20
	v_add_lshl_u32 v23, v14, v20, 4
	v_lshlrev_b32_e32 v28, 6, v1
	v_cndmask_b32_e32 v0, v14, v0, vcc
	v_cndmask_b32_e32 v1, v20, v1, vcc
	s_addc_u32 s17, s17, s21
	s_lshl_b32 s11, s28, 3
	v_pk_mov_b32 v[14:15], 0, 0
	v_add_u32_e32 v26, 0x400, v23
	v_or_b32_e32 v27, 0x400, v3
	v_add3_u32 v18, v1, v0, s11
	v_mov_b32_e32 v0, 0
	v_pk_mov_b32 v[16:17], v[14:15], v[14:15] op_sel:[0,1]
	s_branch .LBB46_12
.LBB46_11:                              ;   in Loop: Header=BB46_12 Depth=1
	s_or_b64 exec, exec, s[20:21]
	s_waitcnt lgkmcnt(0)
	; wave barrier
	s_waitcnt lgkmcnt(0)
	ds_read_b128 v[30:33], v27
	ds_read_b128 v[34:37], v28
	ds_read_b128 v[38:41], v28 offset:16
	ds_read_b128 v[42:45], v27 offset:64
	s_add_i32 s28, s28, 1
	s_add_u32 s16, s16, 4
	s_waitcnt lgkmcnt(2)
	v_fmac_f64_e32 v[16:17], v[30:31], v[34:35]
	v_fmac_f64_e32 v[14:15], v[32:33], v[34:35]
	v_fma_f64 v[2:3], -v[32:33], v[36:37], v[16:17]
	v_fmac_f64_e32 v[14:15], v[30:31], v[36:37]
	s_waitcnt lgkmcnt(0)
	v_fmac_f64_e32 v[2:3], v[42:43], v[38:39]
	v_fmac_f64_e32 v[14:15], v[44:45], v[38:39]
	s_addc_u32 s17, s17, 0
	v_fma_f64 v[16:17], -v[44:45], v[40:41], v[2:3]
	v_fmac_f64_e32 v[14:15], v[42:43], v[40:41]
	s_cmp_ge_i32 s28, s25
	v_add_u32_e32 v18, 8, v18
	s_waitcnt lgkmcnt(0)
	; wave barrier
	s_cbranch_scc1 .LBB46_21
.LBB46_12:                              ; =>This Inner Loop Header: Depth=1
	s_and_saveexec_b64 s[20:21], s[22:23]
	s_xor_b64 s[20:21], exec, s[20:21]
	s_cbranch_execz .LBB46_14
; %bb.13:                               ;   in Loop: Header=BB46_12 Depth=1
	v_mov_b32_e32 v1, v0
	v_mov_b32_e32 v2, v0
	;; [unrolled: 1-line block ×3, first 2 shown]
	ds_write_b128 v23, v[0:3]
.LBB46_14:                              ;   in Loop: Header=BB46_12 Depth=1
	s_andn2_saveexec_b64 s[20:21], s[20:21]
	s_cbranch_execz .LBB46_19
; %bb.15:                               ;   in Loop: Header=BB46_12 Depth=1
	s_load_dword s11, s[16:17], 0x0
	s_mov_b64 s[38:39], -1
	s_and_b64 vcc, exec, s[34:35]
	s_waitcnt lgkmcnt(0)
	s_sub_i32 s11, s11, s24
	s_lshl_b32 s36, s11, 1
	s_cbranch_vccz .LBB46_17
; %bb.16:                               ;   in Loop: Header=BB46_12 Depth=1
	v_or_b32_e32 v1, s36, v20
	s_ashr_i32 s11, s36, 31
	v_mul_lo_u32 v19, v1, s13
	s_mul_i32 s11, s11, s12
	v_mad_u64_u32 v[2:3], s[38:39], v1, s12, 0
	v_add3_u32 v3, v3, v19, s11
	v_lshlrev_b64 v[2:3], 4, v[2:3]
	v_add_co_u32_e32 v2, vcc, v21, v2
	v_addc_co_u32_e32 v3, vcc, v22, v3, vcc
	global_load_dwordx4 v[30:33], v[2:3], off
	s_mov_b64 s[38:39], 0
	s_waitcnt vmcnt(0)
	ds_write2_b64 v23, v[30:31], v[32:33] offset1:1
.LBB46_17:                              ;   in Loop: Header=BB46_12 Depth=1
	s_andn2_b64 vcc, exec, s[38:39]
	s_cbranch_vccnz .LBB46_19
; %bb.18:                               ;   in Loop: Header=BB46_12 Depth=1
	s_ashr_i32 s37, s36, 31
	s_lshl_b64 s[36:37], s[36:37], 4
	v_mov_b32_e32 v1, s37
	v_add_co_u32_e32 v2, vcc, s36, v24
	v_addc_co_u32_e32 v3, vcc, v25, v1, vcc
	global_load_dwordx4 v[30:33], v[2:3], off
	s_waitcnt vmcnt(0)
	ds_write2_b64 v23, v[30:31], v[32:33] offset1:1
.LBB46_19:                              ;   in Loop: Header=BB46_12 Depth=1
	s_or_b64 exec, exec, s[20:21]
	s_and_saveexec_b64 s[20:21], s[30:31]
	s_cbranch_execz .LBB46_11
; %bb.20:                               ;   in Loop: Header=BB46_12 Depth=1
	v_ashrrev_i32_e32 v19, 31, v18
	v_lshlrev_b64 v[2:3], 4, v[18:19]
	v_mov_b32_e32 v1, s19
	v_add_co_u32_e32 v2, vcc, s18, v2
	v_addc_co_u32_e32 v3, vcc, v1, v3, vcc
	global_load_dwordx4 v[30:33], v[2:3], off
	s_waitcnt vmcnt(0)
	ds_write2_b64 v26, v[30:31], v[32:33] offset1:1
	s_branch .LBB46_11
.LBB46_21:
	s_and_b64 s[4:5], s[8:9], s[4:5]
	s_and_b64 s[4:5], s[26:27], s[4:5]
	s_and_b64 exec, exec, s[4:5]
	s_cbranch_execz .LBB46_26
; %bb.22:
	s_load_dwordx2 s[4:5], s[6:7], 0x68
	v_lshl_add_u32 v18, s10, 2, v20
	v_cmp_neq_f64_e32 vcc, 0, v[4:5]
	v_mul_f64 v[2:3], v[8:9], v[14:15]
	v_ashrrev_i32_e32 v19, 31, v18
	s_waitcnt lgkmcnt(0)
	v_mul_lo_u32 v0, v13, s4
	v_mul_lo_u32 v1, v12, s5
	v_mad_u64_u32 v[12:13], s[4:5], v12, s4, 0
	v_add3_u32 v13, v13, v1, v0
	v_cmp_neq_f64_e64 s[4:5], 0, v[6:7]
	v_mul_f64 v[0:1], v[14:15], -v[10:11]
	s_or_b64 s[4:5], vcc, s[4:5]
	v_lshlrev_b64 v[12:13], 4, v[12:13]
	v_fmac_f64_e32 v[0:1], v[8:9], v[16:17]
	v_fmac_f64_e32 v[2:3], v[10:11], v[16:17]
	s_and_saveexec_b64 s[6:7], s[4:5]
	s_xor_b64 s[4:5], exec, s[6:7]
	s_cbranch_execz .LBB46_24
; %bb.23:
	v_mov_b32_e32 v8, s15
	v_add_co_u32_e32 v10, vcc, s14, v12
	v_addc_co_u32_e32 v11, vcc, v8, v13, vcc
	v_lshlrev_b64 v[8:9], 4, v[18:19]
	v_add_co_u32_e32 v12, vcc, v10, v8
	v_addc_co_u32_e32 v13, vcc, v11, v9, vcc
	global_load_dwordx4 v[8:11], v[12:13], off
                                        ; implicit-def: $vgpr18
	s_waitcnt vmcnt(0)
	v_fmac_f64_e32 v[0:1], v[4:5], v[8:9]
	v_fmac_f64_e32 v[2:3], v[6:7], v[8:9]
	v_fma_f64 v[0:1], -v[6:7], v[10:11], v[0:1]
	v_fmac_f64_e32 v[2:3], v[4:5], v[10:11]
	global_store_dwordx4 v[12:13], v[0:3], off
                                        ; implicit-def: $vgpr0_vgpr1
                                        ; implicit-def: $vgpr12_vgpr13
.LBB46_24:
	s_andn2_saveexec_b64 s[4:5], s[4:5]
	s_cbranch_execz .LBB46_26
; %bb.25:
	v_mov_b32_e32 v4, s15
	v_add_co_u32_e32 v6, vcc, s14, v12
	v_addc_co_u32_e32 v7, vcc, v4, v13, vcc
	v_lshlrev_b64 v[4:5], 4, v[18:19]
	v_add_co_u32_e32 v4, vcc, v6, v4
	v_addc_co_u32_e32 v5, vcc, v7, v5, vcc
	global_store_dwordx4 v[4:5], v[0:3], off
.LBB46_26:
	s_endpgm
	.section	.rodata,"a",@progbits
	.p2align	6, 0x0
	.amdhsa_kernel _ZN9rocsparseL29gebsrmm_small_blockdim_kernelILi4ELi2ELi4ELi16E21rocsparse_complex_numIdEEEv20rocsparse_direction_20rocsparse_operation_iiNS_24const_host_device_scalarIT3_EEPKiS9_PKS6_iiSB_lS7_PS6_l21rocsparse_index_base_b
		.amdhsa_group_segment_fixed_size 1792
		.amdhsa_private_segment_fixed_size 16
		.amdhsa_kernarg_size 120
		.amdhsa_user_sgpr_count 10
		.amdhsa_user_sgpr_private_segment_buffer 1
		.amdhsa_user_sgpr_dispatch_ptr 1
		.amdhsa_user_sgpr_queue_ptr 0
		.amdhsa_user_sgpr_kernarg_segment_ptr 1
		.amdhsa_user_sgpr_dispatch_id 0
		.amdhsa_user_sgpr_flat_scratch_init 1
		.amdhsa_user_sgpr_kernarg_preload_length 0
		.amdhsa_user_sgpr_kernarg_preload_offset 0
		.amdhsa_user_sgpr_private_segment_size 0
		.amdhsa_uses_dynamic_stack 0
		.amdhsa_system_sgpr_private_segment_wavefront_offset 1
		.amdhsa_system_sgpr_workgroup_id_x 1
		.amdhsa_system_sgpr_workgroup_id_y 1
		.amdhsa_system_sgpr_workgroup_id_z 0
		.amdhsa_system_sgpr_workgroup_info 0
		.amdhsa_system_vgpr_workitem_id 2
		.amdhsa_next_free_vgpr 46
		.amdhsa_next_free_sgpr 40
		.amdhsa_accum_offset 48
		.amdhsa_reserve_vcc 1
		.amdhsa_reserve_flat_scratch 1
		.amdhsa_float_round_mode_32 0
		.amdhsa_float_round_mode_16_64 0
		.amdhsa_float_denorm_mode_32 3
		.amdhsa_float_denorm_mode_16_64 3
		.amdhsa_dx10_clamp 1
		.amdhsa_ieee_mode 1
		.amdhsa_fp16_overflow 0
		.amdhsa_tg_split 0
		.amdhsa_exception_fp_ieee_invalid_op 0
		.amdhsa_exception_fp_denorm_src 0
		.amdhsa_exception_fp_ieee_div_zero 0
		.amdhsa_exception_fp_ieee_overflow 0
		.amdhsa_exception_fp_ieee_underflow 0
		.amdhsa_exception_fp_ieee_inexact 0
		.amdhsa_exception_int_div_zero 0
	.end_amdhsa_kernel
	.section	.text._ZN9rocsparseL29gebsrmm_small_blockdim_kernelILi4ELi2ELi4ELi16E21rocsparse_complex_numIdEEEv20rocsparse_direction_20rocsparse_operation_iiNS_24const_host_device_scalarIT3_EEPKiS9_PKS6_iiSB_lS7_PS6_l21rocsparse_index_base_b,"axG",@progbits,_ZN9rocsparseL29gebsrmm_small_blockdim_kernelILi4ELi2ELi4ELi16E21rocsparse_complex_numIdEEEv20rocsparse_direction_20rocsparse_operation_iiNS_24const_host_device_scalarIT3_EEPKiS9_PKS6_iiSB_lS7_PS6_l21rocsparse_index_base_b,comdat
.Lfunc_end46:
	.size	_ZN9rocsparseL29gebsrmm_small_blockdim_kernelILi4ELi2ELi4ELi16E21rocsparse_complex_numIdEEEv20rocsparse_direction_20rocsparse_operation_iiNS_24const_host_device_scalarIT3_EEPKiS9_PKS6_iiSB_lS7_PS6_l21rocsparse_index_base_b, .Lfunc_end46-_ZN9rocsparseL29gebsrmm_small_blockdim_kernelILi4ELi2ELi4ELi16E21rocsparse_complex_numIdEEEv20rocsparse_direction_20rocsparse_operation_iiNS_24const_host_device_scalarIT3_EEPKiS9_PKS6_iiSB_lS7_PS6_l21rocsparse_index_base_b
                                        ; -- End function
	.section	.AMDGPU.csdata,"",@progbits
; Kernel info:
; codeLenInByte = 1388
; NumSgprs: 46
; NumVgprs: 46
; NumAgprs: 0
; TotalNumVgprs: 46
; ScratchSize: 16
; MemoryBound: 0
; FloatMode: 240
; IeeeMode: 1
; LDSByteSize: 1792 bytes/workgroup (compile time only)
; SGPRBlocks: 5
; VGPRBlocks: 5
; NumSGPRsForWavesPerEU: 46
; NumVGPRsForWavesPerEU: 46
; AccumOffset: 48
; Occupancy: 8
; WaveLimiterHint : 0
; COMPUTE_PGM_RSRC2:SCRATCH_EN: 1
; COMPUTE_PGM_RSRC2:USER_SGPR: 10
; COMPUTE_PGM_RSRC2:TRAP_HANDLER: 0
; COMPUTE_PGM_RSRC2:TGID_X_EN: 1
; COMPUTE_PGM_RSRC2:TGID_Y_EN: 1
; COMPUTE_PGM_RSRC2:TGID_Z_EN: 0
; COMPUTE_PGM_RSRC2:TIDIG_COMP_CNT: 2
; COMPUTE_PGM_RSRC3_GFX90A:ACCUM_OFFSET: 11
; COMPUTE_PGM_RSRC3_GFX90A:TG_SPLIT: 0
	.section	.text._ZN9rocsparseL29gebsrmm_small_blockdim_kernelILi4ELi3ELi4ELi16E21rocsparse_complex_numIdEEEv20rocsparse_direction_20rocsparse_operation_iiNS_24const_host_device_scalarIT3_EEPKiS9_PKS6_iiSB_lS7_PS6_l21rocsparse_index_base_b,"axG",@progbits,_ZN9rocsparseL29gebsrmm_small_blockdim_kernelILi4ELi3ELi4ELi16E21rocsparse_complex_numIdEEEv20rocsparse_direction_20rocsparse_operation_iiNS_24const_host_device_scalarIT3_EEPKiS9_PKS6_iiSB_lS7_PS6_l21rocsparse_index_base_b,comdat
	.globl	_ZN9rocsparseL29gebsrmm_small_blockdim_kernelILi4ELi3ELi4ELi16E21rocsparse_complex_numIdEEEv20rocsparse_direction_20rocsparse_operation_iiNS_24const_host_device_scalarIT3_EEPKiS9_PKS6_iiSB_lS7_PS6_l21rocsparse_index_base_b ; -- Begin function _ZN9rocsparseL29gebsrmm_small_blockdim_kernelILi4ELi3ELi4ELi16E21rocsparse_complex_numIdEEEv20rocsparse_direction_20rocsparse_operation_iiNS_24const_host_device_scalarIT3_EEPKiS9_PKS6_iiSB_lS7_PS6_l21rocsparse_index_base_b
	.p2align	8
	.type	_ZN9rocsparseL29gebsrmm_small_blockdim_kernelILi4ELi3ELi4ELi16E21rocsparse_complex_numIdEEEv20rocsparse_direction_20rocsparse_operation_iiNS_24const_host_device_scalarIT3_EEPKiS9_PKS6_iiSB_lS7_PS6_l21rocsparse_index_base_b,@function
_ZN9rocsparseL29gebsrmm_small_blockdim_kernelILi4ELi3ELi4ELi16E21rocsparse_complex_numIdEEEv20rocsparse_direction_20rocsparse_operation_iiNS_24const_host_device_scalarIT3_EEPKiS9_PKS6_iiSB_lS7_PS6_l21rocsparse_index_base_b: ; @_ZN9rocsparseL29gebsrmm_small_blockdim_kernelILi4ELi3ELi4ELi16E21rocsparse_complex_numIdEEEv20rocsparse_direction_20rocsparse_operation_iiNS_24const_host_device_scalarIT3_EEPKiS9_PKS6_iiSB_lS7_PS6_l21rocsparse_index_base_b
; %bb.0:
	s_add_u32 flat_scratch_lo, s8, s12
	s_addc_u32 flat_scratch_hi, s9, 0
	s_add_u32 s0, s0, s12
	s_load_dwordx2 s[24:25], s[6:7], 0x70
	s_load_dwordx4 s[12:15], s[6:7], 0x10
	s_load_dwordx4 s[16:19], s[6:7], 0x48
	s_load_dwordx2 s[20:21], s[4:5], 0x4
	s_addc_u32 s1, s1, 0
	s_waitcnt lgkmcnt(0)
	s_bitcmp1_b32 s25, 0
	s_cselect_b64 s[4:5], -1, 0
	s_mov_b64 s[8:9], src_shared_base
	s_and_b64 vcc, s[4:5], exec
	s_cselect_b32 s8, s9, s13
	s_lshr_b32 s9, s20, 16
	v_bfe_u32 v1, v0, 10, 10
	v_and_b32_e32 v18, 0x3ff, v0
	s_mul_i32 s9, s9, s21
	v_mul_u32_u24_e32 v2, s21, v1
	v_mad_u32_u24 v2, s9, v18, v2
	v_bfe_u32 v0, v0, 20, 10
	v_add_lshl_u32 v0, v2, v0, 3
	v_pk_mov_b32 v[2:3], s[12:13], s[12:13] op_sel:[0,1]
	v_add_u32_e32 v5, 0x500, v0
	ds_write_b64 v0, v[2:3] offset:1280
	v_mov_b32_e32 v0, s18
	v_mov_b32_e32 v4, s12
	buffer_store_dword v0, off, s[0:3], 0
	v_mov_b32_e32 v0, s19
	buffer_store_dword v0, off, s[0:3], 0 offset:4
	v_cndmask_b32_e64 v2, v4, v5, s[4:5]
	v_mov_b32_e32 v3, s8
	flat_load_dwordx2 v[8:9], v[2:3]
	s_load_dwordx2 s[8:9], s[6:7], 0x58
	s_xor_b64 s[20:21], s[4:5], -1
	v_pk_mov_b32 v[10:11], s[14:15], s[14:15] op_sel:[0,1]
	s_cbranch_vccnz .LBB47_2
; %bb.1:
	v_pk_mov_b32 v[2:3], s[12:13], s[12:13] op_sel:[0,1]
	flat_load_dwordx2 v[10:11], v[2:3] offset:8
.LBB47_2:
	s_mov_b64 s[12:13], src_private_base
	s_and_b64 s[14:15], s[4:5], exec
	s_cselect_b32 s12, s13, s19
	v_mov_b32_e32 v0, 0
	v_mov_b32_e32 v2, s18
	v_cndmask_b32_e64 v2, v2, v0, s[4:5]
	v_mov_b32_e32 v3, s12
	flat_load_dwordx2 v[4:5], v[2:3]
	s_andn2_b64 vcc, exec, s[20:21]
	s_waitcnt lgkmcnt(0)
	v_pk_mov_b32 v[6:7], s[8:9], s[8:9] op_sel:[0,1]
	s_cbranch_vccnz .LBB47_4
; %bb.3:
	v_pk_mov_b32 v[2:3], s[18:19], s[18:19] op_sel:[0,1]
	flat_load_dwordx2 v[6:7], v[2:3] offset:8
.LBB47_4:
	s_waitcnt vmcnt(0)
	v_cmp_eq_f64_e32 vcc, 0, v[8:9]
	v_cmp_eq_f64_e64 s[4:5], 0, v[10:11]
	s_and_b64 s[12:13], vcc, s[4:5]
	s_mov_b64 s[4:5], -1
	s_and_saveexec_b64 s[8:9], s[12:13]
	s_cbranch_execz .LBB47_6
; %bb.5:
	v_cmp_neq_f64_e32 vcc, 1.0, v[4:5]
	s_waitcnt lgkmcnt(0)
	v_cmp_neq_f64_e64 s[4:5], 0, v[6:7]
	s_or_b64 s[4:5], vcc, s[4:5]
	s_orn2_b64 s[4:5], s[4:5], exec
.LBB47_6:
	s_or_b64 exec, exec, s[8:9]
	s_and_saveexec_b64 s[8:9], s[4:5]
	s_cbranch_execz .LBB47_26
; %bb.7:
	s_load_dwordx4 s[12:15], s[6:7], 0x0
	s_mov_b32 s28, 0
	s_mov_b32 s25, 0
	s_waitcnt lgkmcnt(0)
	s_cmp_lt_i32 s10, s14
	s_cselect_b64 s[26:27], -1, 0
	s_cmp_ge_i32 s10, s14
	s_cbranch_scc1 .LBB47_9
; %bb.8:
	s_load_dwordx2 s[8:9], s[6:7], 0x20
	s_mov_b32 s4, s11
	s_ashr_i32 s11, s10, 31
	s_lshl_b64 s[18:19], s[10:11], 2
	s_mov_b32 s11, s4
	s_waitcnt lgkmcnt(0)
	s_add_u32 s4, s8, s18
	s_addc_u32 s5, s9, s19
	s_load_dwordx2 s[4:5], s[4:5], 0x0
	s_waitcnt lgkmcnt(0)
	s_sub_i32 s28, s4, s24
	s_sub_i32 s25, s5, s24
.LBB47_9:
	s_load_dwordx2 s[18:19], s[6:7], 0x60
	v_lshl_add_u32 v12, s11, 4, v1
	v_pk_mov_b32 v[14:15], 0, 0
	v_ashrrev_i32_e32 v13, 31, v12
	v_cmp_gt_i32_e64 s[4:5], s15, v12
	v_cmp_gt_u32_e64 s[8:9], 4, v18
	s_cmp_ge_i32 s28, s25
	v_pk_mov_b32 v[16:17], v[14:15], v[14:15] op_sel:[0,1]
	s_cbranch_scc1 .LBB47_21
; %bb.10:
	s_load_dwordx4 s[20:23], s[6:7], 0x28
	s_load_dwordx2 s[36:37], s[6:7], 0x40
	v_cmp_lt_u32_e32 vcc, 2, v18
	s_xor_b64 s[14:15], s[4:5], -1
	s_or_b64 s[14:15], vcc, s[14:15]
	v_cmp_gt_u32_e32 vcc, 3, v1
	v_lshlrev_b64 v[2:3], 4, v[12:13]
	s_and_b64 s[30:31], s[8:9], vcc
	s_waitcnt lgkmcnt(0)
	v_mov_b32_e32 v14, s37
	v_add_co_u32_e32 v19, vcc, s36, v2
	v_addc_co_u32_e32 v20, vcc, v14, v3, vcc
	v_mul_lo_u32 v15, v13, s16
	v_mul_lo_u32 v16, v12, s17
	v_mad_u64_u32 v[2:3], s[34:35], v12, s16, 0
	v_add3_u32 v3, v3, v16, v15
	s_cmpk_lg_i32 s13, 0x6f
	s_cselect_b64 s[34:35], -1, 0
	v_lshlrev_b64 v[2:3], 4, v[2:3]
	s_cmp_eq_u32 s12, 0
	v_add_co_u32_e32 v2, vcc, s36, v2
	s_cselect_b64 s[12:13], -1, 0
	s_ashr_i32 s29, s28, 31
	v_lshlrev_b32_e32 v0, 2, v1
	v_addc_co_u32_e32 v3, vcc, v14, v3, vcc
	v_lshlrev_b32_e32 v14, 4, v18
	s_lshl_b64 s[36:37], s[28:29], 2
	v_add_lshl_u32 v21, v0, v18, 4
	v_add_co_u32_e32 v22, vcc, v2, v14
	v_mul_u32_u24_e32 v2, 3, v18
	v_or_b32_e32 v25, 0x400, v14
	s_add_u32 s20, s20, s36
	s_mul_i32 s11, s28, 12
	v_pk_mov_b32 v[14:15], 0, 0
	v_addc_co_u32_e32 v23, vcc, 0, v3, vcc
	v_add_u32_e32 v24, 0x400, v21
	v_lshlrev_b32_e32 v26, 6, v1
	s_addc_u32 s21, s21, s37
	v_add3_u32 v27, v18, s11, v0
	v_add3_u32 v28, v2, v1, s11
	v_mov_b32_e32 v0, 0
	v_pk_mov_b32 v[16:17], v[14:15], v[14:15] op_sel:[0,1]
	s_branch .LBB47_12
.LBB47_11:                              ;   in Loop: Header=BB47_12 Depth=1
	s_or_b64 exec, exec, s[36:37]
	s_waitcnt lgkmcnt(0)
	; wave barrier
	s_waitcnt lgkmcnt(0)
	ds_read_b128 v[30:33], v25
	ds_read_b128 v[34:37], v26
	ds_read_b128 v[38:41], v26 offset:16
	ds_read_b128 v[42:45], v26 offset:32
	;; [unrolled: 1-line block ×4, first 2 shown]
	s_waitcnt lgkmcnt(4)
	v_fmac_f64_e32 v[16:17], v[30:31], v[34:35]
	v_fmac_f64_e32 v[14:15], v[32:33], v[34:35]
	v_fma_f64 v[2:3], -v[32:33], v[36:37], v[16:17]
	v_fmac_f64_e32 v[14:15], v[30:31], v[36:37]
	s_waitcnt lgkmcnt(1)
	v_fmac_f64_e32 v[2:3], v[46:47], v[38:39]
	v_fmac_f64_e32 v[14:15], v[48:49], v[38:39]
	s_add_i32 s28, s28, 1
	v_fma_f64 v[2:3], -v[48:49], v[40:41], v[2:3]
	v_fmac_f64_e32 v[14:15], v[46:47], v[40:41]
	s_add_u32 s20, s20, 4
	s_waitcnt lgkmcnt(0)
	v_fmac_f64_e32 v[2:3], v[50:51], v[42:43]
	v_fmac_f64_e32 v[14:15], v[52:53], v[42:43]
	s_addc_u32 s21, s21, 0
	v_fma_f64 v[16:17], -v[52:53], v[44:45], v[2:3]
	v_fmac_f64_e32 v[14:15], v[50:51], v[44:45]
	v_add_u32_e32 v27, 12, v27
	s_cmp_ge_i32 s28, s25
	v_add_u32_e32 v28, 12, v28
	s_waitcnt lgkmcnt(0)
	; wave barrier
	s_cbranch_scc1 .LBB47_21
.LBB47_12:                              ; =>This Inner Loop Header: Depth=1
	s_and_saveexec_b64 s[36:37], s[14:15]
	s_xor_b64 s[36:37], exec, s[36:37]
	s_cbranch_execz .LBB47_14
; %bb.13:                               ;   in Loop: Header=BB47_12 Depth=1
	v_mov_b32_e32 v1, v0
	v_mov_b32_e32 v2, v0
	;; [unrolled: 1-line block ×3, first 2 shown]
	ds_write_b128 v21, v[0:3]
.LBB47_14:                              ;   in Loop: Header=BB47_12 Depth=1
	s_andn2_saveexec_b64 s[36:37], s[36:37]
	s_cbranch_execz .LBB47_19
; %bb.15:                               ;   in Loop: Header=BB47_12 Depth=1
	s_load_dword s11, s[20:21], 0x0
	s_mov_b64 s[40:41], -1
	s_and_b64 vcc, exec, s[34:35]
	s_waitcnt lgkmcnt(0)
	s_sub_i32 s11, s11, s24
	s_mul_i32 s38, s11, 3
	s_cbranch_vccz .LBB47_17
; %bb.16:                               ;   in Loop: Header=BB47_12 Depth=1
	v_add_u32_e32 v1, s38, v18
	v_ashrrev_i32_e32 v2, 31, v1
	v_mul_lo_u32 v29, v2, s16
	v_mul_lo_u32 v30, v1, s17
	v_mad_u64_u32 v[2:3], s[40:41], v1, s16, 0
	v_add3_u32 v3, v3, v30, v29
	v_lshlrev_b64 v[2:3], 4, v[2:3]
	v_add_co_u32_e32 v2, vcc, v19, v2
	v_addc_co_u32_e32 v3, vcc, v20, v3, vcc
	global_load_dwordx4 v[30:33], v[2:3], off
	s_mov_b64 s[40:41], 0
	s_waitcnt vmcnt(0)
	ds_write2_b64 v21, v[30:31], v[32:33] offset1:1
.LBB47_17:                              ;   in Loop: Header=BB47_12 Depth=1
	s_andn2_b64 vcc, exec, s[40:41]
	s_cbranch_vccnz .LBB47_19
; %bb.18:                               ;   in Loop: Header=BB47_12 Depth=1
	s_ashr_i32 s39, s38, 31
	s_lshl_b64 s[38:39], s[38:39], 4
	v_mov_b32_e32 v1, s39
	v_add_co_u32_e32 v2, vcc, s38, v22
	v_addc_co_u32_e32 v3, vcc, v23, v1, vcc
	global_load_dwordx4 v[30:33], v[2:3], off
	s_waitcnt vmcnt(0)
	ds_write2_b64 v21, v[30:31], v[32:33] offset1:1
.LBB47_19:                              ;   in Loop: Header=BB47_12 Depth=1
	s_or_b64 exec, exec, s[36:37]
	s_and_saveexec_b64 s[36:37], s[30:31]
	s_cbranch_execz .LBB47_11
; %bb.20:                               ;   in Loop: Header=BB47_12 Depth=1
	v_cndmask_b32_e64 v2, v27, v28, s[12:13]
	v_ashrrev_i32_e32 v3, 31, v2
	v_lshlrev_b64 v[2:3], 4, v[2:3]
	v_mov_b32_e32 v1, s23
	v_add_co_u32_e32 v2, vcc, s22, v2
	v_addc_co_u32_e32 v3, vcc, v1, v3, vcc
	global_load_dwordx4 v[30:33], v[2:3], off
	s_waitcnt vmcnt(0)
	ds_write2_b64 v24, v[30:31], v[32:33] offset1:1
	s_branch .LBB47_11
.LBB47_21:
	s_and_b64 s[4:5], s[8:9], s[4:5]
	s_and_b64 s[4:5], s[26:27], s[4:5]
	s_and_b64 exec, exec, s[4:5]
	s_cbranch_execz .LBB47_26
; %bb.22:
	s_load_dwordx2 s[4:5], s[6:7], 0x68
	v_lshl_add_u32 v18, s10, 2, v18
	v_cmp_neq_f64_e32 vcc, 0, v[4:5]
	v_mul_f64 v[2:3], v[8:9], v[14:15]
	v_ashrrev_i32_e32 v19, 31, v18
	s_waitcnt lgkmcnt(0)
	v_mul_lo_u32 v0, v13, s4
	v_mul_lo_u32 v1, v12, s5
	v_mad_u64_u32 v[12:13], s[4:5], v12, s4, 0
	v_add3_u32 v13, v13, v1, v0
	v_cmp_neq_f64_e64 s[4:5], 0, v[6:7]
	v_mul_f64 v[0:1], v[14:15], -v[10:11]
	s_or_b64 s[4:5], vcc, s[4:5]
	v_lshlrev_b64 v[12:13], 4, v[12:13]
	v_fmac_f64_e32 v[0:1], v[8:9], v[16:17]
	v_fmac_f64_e32 v[2:3], v[10:11], v[16:17]
	s_and_saveexec_b64 s[6:7], s[4:5]
	s_xor_b64 s[4:5], exec, s[6:7]
	s_cbranch_execz .LBB47_24
; %bb.23:
	v_mov_b32_e32 v8, s19
	v_add_co_u32_e32 v10, vcc, s18, v12
	v_addc_co_u32_e32 v11, vcc, v8, v13, vcc
	v_lshlrev_b64 v[8:9], 4, v[18:19]
	v_add_co_u32_e32 v12, vcc, v10, v8
	v_addc_co_u32_e32 v13, vcc, v11, v9, vcc
	global_load_dwordx4 v[8:11], v[12:13], off
                                        ; implicit-def: $vgpr18
	s_waitcnt vmcnt(0)
	v_fmac_f64_e32 v[0:1], v[4:5], v[8:9]
	v_fmac_f64_e32 v[2:3], v[6:7], v[8:9]
	v_fma_f64 v[0:1], -v[6:7], v[10:11], v[0:1]
	v_fmac_f64_e32 v[2:3], v[4:5], v[10:11]
	global_store_dwordx4 v[12:13], v[0:3], off
                                        ; implicit-def: $vgpr0_vgpr1
                                        ; implicit-def: $vgpr12_vgpr13
.LBB47_24:
	s_andn2_saveexec_b64 s[4:5], s[4:5]
	s_cbranch_execz .LBB47_26
; %bb.25:
	v_mov_b32_e32 v4, s19
	v_add_co_u32_e32 v6, vcc, s18, v12
	v_addc_co_u32_e32 v7, vcc, v4, v13, vcc
	v_lshlrev_b64 v[4:5], 4, v[18:19]
	v_add_co_u32_e32 v4, vcc, v6, v4
	v_addc_co_u32_e32 v5, vcc, v7, v5, vcc
	global_store_dwordx4 v[4:5], v[0:3], off
.LBB47_26:
	s_endpgm
	.section	.rodata,"a",@progbits
	.p2align	6, 0x0
	.amdhsa_kernel _ZN9rocsparseL29gebsrmm_small_blockdim_kernelILi4ELi3ELi4ELi16E21rocsparse_complex_numIdEEEv20rocsparse_direction_20rocsparse_operation_iiNS_24const_host_device_scalarIT3_EEPKiS9_PKS6_iiSB_lS7_PS6_l21rocsparse_index_base_b
		.amdhsa_group_segment_fixed_size 1792
		.amdhsa_private_segment_fixed_size 16
		.amdhsa_kernarg_size 120
		.amdhsa_user_sgpr_count 10
		.amdhsa_user_sgpr_private_segment_buffer 1
		.amdhsa_user_sgpr_dispatch_ptr 1
		.amdhsa_user_sgpr_queue_ptr 0
		.amdhsa_user_sgpr_kernarg_segment_ptr 1
		.amdhsa_user_sgpr_dispatch_id 0
		.amdhsa_user_sgpr_flat_scratch_init 1
		.amdhsa_user_sgpr_kernarg_preload_length 0
		.amdhsa_user_sgpr_kernarg_preload_offset 0
		.amdhsa_user_sgpr_private_segment_size 0
		.amdhsa_uses_dynamic_stack 0
		.amdhsa_system_sgpr_private_segment_wavefront_offset 1
		.amdhsa_system_sgpr_workgroup_id_x 1
		.amdhsa_system_sgpr_workgroup_id_y 1
		.amdhsa_system_sgpr_workgroup_id_z 0
		.amdhsa_system_sgpr_workgroup_info 0
		.amdhsa_system_vgpr_workitem_id 2
		.amdhsa_next_free_vgpr 54
		.amdhsa_next_free_sgpr 42
		.amdhsa_accum_offset 56
		.amdhsa_reserve_vcc 1
		.amdhsa_reserve_flat_scratch 1
		.amdhsa_float_round_mode_32 0
		.amdhsa_float_round_mode_16_64 0
		.amdhsa_float_denorm_mode_32 3
		.amdhsa_float_denorm_mode_16_64 3
		.amdhsa_dx10_clamp 1
		.amdhsa_ieee_mode 1
		.amdhsa_fp16_overflow 0
		.amdhsa_tg_split 0
		.amdhsa_exception_fp_ieee_invalid_op 0
		.amdhsa_exception_fp_denorm_src 0
		.amdhsa_exception_fp_ieee_div_zero 0
		.amdhsa_exception_fp_ieee_overflow 0
		.amdhsa_exception_fp_ieee_underflow 0
		.amdhsa_exception_fp_ieee_inexact 0
		.amdhsa_exception_int_div_zero 0
	.end_amdhsa_kernel
	.section	.text._ZN9rocsparseL29gebsrmm_small_blockdim_kernelILi4ELi3ELi4ELi16E21rocsparse_complex_numIdEEEv20rocsparse_direction_20rocsparse_operation_iiNS_24const_host_device_scalarIT3_EEPKiS9_PKS6_iiSB_lS7_PS6_l21rocsparse_index_base_b,"axG",@progbits,_ZN9rocsparseL29gebsrmm_small_blockdim_kernelILi4ELi3ELi4ELi16E21rocsparse_complex_numIdEEEv20rocsparse_direction_20rocsparse_operation_iiNS_24const_host_device_scalarIT3_EEPKiS9_PKS6_iiSB_lS7_PS6_l21rocsparse_index_base_b,comdat
.Lfunc_end47:
	.size	_ZN9rocsparseL29gebsrmm_small_blockdim_kernelILi4ELi3ELi4ELi16E21rocsparse_complex_numIdEEEv20rocsparse_direction_20rocsparse_operation_iiNS_24const_host_device_scalarIT3_EEPKiS9_PKS6_iiSB_lS7_PS6_l21rocsparse_index_base_b, .Lfunc_end47-_ZN9rocsparseL29gebsrmm_small_blockdim_kernelILi4ELi3ELi4ELi16E21rocsparse_complex_numIdEEEv20rocsparse_direction_20rocsparse_operation_iiNS_24const_host_device_scalarIT3_EEPKiS9_PKS6_iiSB_lS7_PS6_l21rocsparse_index_base_b
                                        ; -- End function
	.section	.AMDGPU.csdata,"",@progbits
; Kernel info:
; codeLenInByte = 1444
; NumSgprs: 48
; NumVgprs: 54
; NumAgprs: 0
; TotalNumVgprs: 54
; ScratchSize: 16
; MemoryBound: 0
; FloatMode: 240
; IeeeMode: 1
; LDSByteSize: 1792 bytes/workgroup (compile time only)
; SGPRBlocks: 5
; VGPRBlocks: 6
; NumSGPRsForWavesPerEU: 48
; NumVGPRsForWavesPerEU: 54
; AccumOffset: 56
; Occupancy: 8
; WaveLimiterHint : 0
; COMPUTE_PGM_RSRC2:SCRATCH_EN: 1
; COMPUTE_PGM_RSRC2:USER_SGPR: 10
; COMPUTE_PGM_RSRC2:TRAP_HANDLER: 0
; COMPUTE_PGM_RSRC2:TGID_X_EN: 1
; COMPUTE_PGM_RSRC2:TGID_Y_EN: 1
; COMPUTE_PGM_RSRC2:TGID_Z_EN: 0
; COMPUTE_PGM_RSRC2:TIDIG_COMP_CNT: 2
; COMPUTE_PGM_RSRC3_GFX90A:ACCUM_OFFSET: 13
; COMPUTE_PGM_RSRC3_GFX90A:TG_SPLIT: 0
	.text
	.p2alignl 6, 3212836864
	.fill 256, 4, 3212836864
	.type	__hip_cuid_d35da9a17ffbdf01,@object ; @__hip_cuid_d35da9a17ffbdf01
	.section	.bss,"aw",@nobits
	.globl	__hip_cuid_d35da9a17ffbdf01
__hip_cuid_d35da9a17ffbdf01:
	.byte	0                               ; 0x0
	.size	__hip_cuid_d35da9a17ffbdf01, 1

	.ident	"AMD clang version 19.0.0git (https://github.com/RadeonOpenCompute/llvm-project roc-6.4.0 25133 c7fe45cf4b819c5991fe208aaa96edf142730f1d)"
	.section	".note.GNU-stack","",@progbits
	.addrsig
	.addrsig_sym __hip_cuid_d35da9a17ffbdf01
	.amdgpu_metadata
---
amdhsa.kernels:
  - .agpr_count:     0
    .args:
      - .offset:         0
        .size:           4
        .value_kind:     by_value
      - .offset:         4
        .size:           4
        .value_kind:     by_value
      - .offset:         8
        .size:           4
        .value_kind:     by_value
      - .offset:         12
        .size:           4
        .value_kind:     by_value
      - .offset:         16
        .size:           8
        .value_kind:     by_value
      - .actual_access:  read_only
        .address_space:  global
        .offset:         24
        .size:           8
        .value_kind:     global_buffer
      - .actual_access:  read_only
        .address_space:  global
        .offset:         32
        .size:           8
        .value_kind:     global_buffer
      - .actual_access:  read_only
        .address_space:  global
        .offset:         40
        .size:           8
        .value_kind:     global_buffer
      - .offset:         48
        .size:           4
        .value_kind:     by_value
      - .offset:         52
        .size:           4
        .value_kind:     by_value
      - .actual_access:  read_only
        .address_space:  global
        .offset:         56
        .size:           8
        .value_kind:     global_buffer
      - .offset:         64
        .size:           8
        .value_kind:     by_value
      - .offset:         72
        .size:           8
        .value_kind:     by_value
      - .address_space:  global
        .offset:         80
        .size:           8
        .value_kind:     global_buffer
      - .offset:         88
        .size:           8
        .value_kind:     by_value
      - .offset:         96
        .size:           4
        .value_kind:     by_value
      - .offset:         100
        .size:           1
        .value_kind:     by_value
    .group_segment_fixed_size: 144
    .kernarg_segment_align: 8
    .kernarg_segment_size: 104
    .language:       OpenCL C
    .language_version:
      - 2
      - 0
    .max_flat_workgroup_size: 32
    .name:           _ZN9rocsparseL29gebsrmm_small_blockdim_kernelILi1ELi2ELi2ELi16EfEEv20rocsparse_direction_20rocsparse_operation_iiNS_24const_host_device_scalarIT3_EEPKiS7_PKS4_iiS9_lS5_PS4_l21rocsparse_index_base_b
    .private_segment_fixed_size: 0
    .sgpr_count:     44
    .sgpr_spill_count: 0
    .symbol:         _ZN9rocsparseL29gebsrmm_small_blockdim_kernelILi1ELi2ELi2ELi16EfEEv20rocsparse_direction_20rocsparse_operation_iiNS_24const_host_device_scalarIT3_EEPKiS7_PKS4_iiS9_lS5_PS4_l21rocsparse_index_base_b.kd
    .uniform_work_group_size: 1
    .uses_dynamic_stack: false
    .vgpr_count:     18
    .vgpr_spill_count: 0
    .wavefront_size: 64
  - .agpr_count:     0
    .args:
      - .offset:         0
        .size:           4
        .value_kind:     by_value
      - .offset:         4
        .size:           4
        .value_kind:     by_value
      - .offset:         8
        .size:           4
        .value_kind:     by_value
      - .offset:         12
        .size:           4
        .value_kind:     by_value
      - .offset:         16
        .size:           8
        .value_kind:     by_value
      - .actual_access:  read_only
        .address_space:  global
        .offset:         24
        .size:           8
        .value_kind:     global_buffer
      - .actual_access:  read_only
        .address_space:  global
        .offset:         32
        .size:           8
        .value_kind:     global_buffer
      - .actual_access:  read_only
        .address_space:  global
        .offset:         40
        .size:           8
        .value_kind:     global_buffer
      - .offset:         48
        .size:           4
        .value_kind:     by_value
      - .offset:         52
        .size:           4
        .value_kind:     by_value
      - .actual_access:  read_only
        .address_space:  global
        .offset:         56
        .size:           8
        .value_kind:     global_buffer
      - .offset:         64
        .size:           8
        .value_kind:     by_value
      - .offset:         72
        .size:           8
        .value_kind:     by_value
      - .address_space:  global
        .offset:         80
        .size:           8
        .value_kind:     global_buffer
      - .offset:         88
        .size:           8
        .value_kind:     by_value
      - .offset:         96
        .size:           4
        .value_kind:     by_value
      - .offset:         100
        .size:           1
        .value_kind:     by_value
    .group_segment_fixed_size: 228
    .kernarg_segment_align: 8
    .kernarg_segment_size: 104
    .language:       OpenCL C
    .language_version:
      - 2
      - 0
    .max_flat_workgroup_size: 48
    .name:           _ZN9rocsparseL29gebsrmm_small_blockdim_kernelILi1ELi3ELi3ELi16EfEEv20rocsparse_direction_20rocsparse_operation_iiNS_24const_host_device_scalarIT3_EEPKiS7_PKS4_iiS9_lS5_PS4_l21rocsparse_index_base_b
    .private_segment_fixed_size: 0
    .sgpr_count:     44
    .sgpr_spill_count: 0
    .symbol:         _ZN9rocsparseL29gebsrmm_small_blockdim_kernelILi1ELi3ELi3ELi16EfEEv20rocsparse_direction_20rocsparse_operation_iiNS_24const_host_device_scalarIT3_EEPKiS7_PKS4_iiS9_lS5_PS4_l21rocsparse_index_base_b.kd
    .uniform_work_group_size: 1
    .uses_dynamic_stack: false
    .vgpr_count:     19
    .vgpr_spill_count: 0
    .wavefront_size: 64
  - .agpr_count:     0
    .args:
      - .offset:         0
        .size:           4
        .value_kind:     by_value
      - .offset:         4
        .size:           4
        .value_kind:     by_value
      - .offset:         8
        .size:           4
        .value_kind:     by_value
      - .offset:         12
        .size:           4
        .value_kind:     by_value
      - .offset:         16
        .size:           8
        .value_kind:     by_value
      - .actual_access:  read_only
        .address_space:  global
        .offset:         24
        .size:           8
        .value_kind:     global_buffer
      - .actual_access:  read_only
        .address_space:  global
        .offset:         32
        .size:           8
        .value_kind:     global_buffer
      - .actual_access:  read_only
        .address_space:  global
        .offset:         40
        .size:           8
        .value_kind:     global_buffer
      - .offset:         48
        .size:           4
        .value_kind:     by_value
      - .offset:         52
        .size:           4
        .value_kind:     by_value
      - .actual_access:  read_only
        .address_space:  global
        .offset:         56
        .size:           8
        .value_kind:     global_buffer
      - .offset:         64
        .size:           8
        .value_kind:     by_value
      - .offset:         72
        .size:           8
        .value_kind:     by_value
      - .address_space:  global
        .offset:         80
        .size:           8
        .value_kind:     global_buffer
      - .offset:         88
        .size:           8
        .value_kind:     by_value
      - .offset:         96
        .size:           4
        .value_kind:     by_value
      - .offset:         100
        .size:           1
        .value_kind:     by_value
    .group_segment_fixed_size: 320
    .kernarg_segment_align: 8
    .kernarg_segment_size: 104
    .language:       OpenCL C
    .language_version:
      - 2
      - 0
    .max_flat_workgroup_size: 64
    .name:           _ZN9rocsparseL29gebsrmm_small_blockdim_kernelILi1ELi4ELi4ELi16EfEEv20rocsparse_direction_20rocsparse_operation_iiNS_24const_host_device_scalarIT3_EEPKiS7_PKS4_iiS9_lS5_PS4_l21rocsparse_index_base_b
    .private_segment_fixed_size: 0
    .sgpr_count:     44
    .sgpr_spill_count: 0
    .symbol:         _ZN9rocsparseL29gebsrmm_small_blockdim_kernelILi1ELi4ELi4ELi16EfEEv20rocsparse_direction_20rocsparse_operation_iiNS_24const_host_device_scalarIT3_EEPKiS7_PKS4_iiS9_lS5_PS4_l21rocsparse_index_base_b.kd
    .uniform_work_group_size: 1
    .uses_dynamic_stack: false
    .vgpr_count:     22
    .vgpr_spill_count: 0
    .wavefront_size: 64
  - .agpr_count:     0
    .args:
      - .offset:         0
        .size:           4
        .value_kind:     by_value
      - .offset:         4
        .size:           4
        .value_kind:     by_value
      - .offset:         8
        .size:           4
        .value_kind:     by_value
      - .offset:         12
        .size:           4
        .value_kind:     by_value
      - .offset:         16
        .size:           8
        .value_kind:     by_value
      - .actual_access:  read_only
        .address_space:  global
        .offset:         24
        .size:           8
        .value_kind:     global_buffer
      - .actual_access:  read_only
        .address_space:  global
        .offset:         32
        .size:           8
        .value_kind:     global_buffer
      - .actual_access:  read_only
        .address_space:  global
        .offset:         40
        .size:           8
        .value_kind:     global_buffer
      - .offset:         48
        .size:           4
        .value_kind:     by_value
      - .offset:         52
        .size:           4
        .value_kind:     by_value
      - .actual_access:  read_only
        .address_space:  global
        .offset:         56
        .size:           8
        .value_kind:     global_buffer
      - .offset:         64
        .size:           8
        .value_kind:     by_value
      - .offset:         72
        .size:           8
        .value_kind:     by_value
      - .address_space:  global
        .offset:         80
        .size:           8
        .value_kind:     global_buffer
      - .offset:         88
        .size:           8
        .value_kind:     by_value
      - .offset:         96
        .size:           4
        .value_kind:     by_value
      - .offset:         100
        .size:           1
        .value_kind:     by_value
    .group_segment_fixed_size: 144
    .kernarg_segment_align: 8
    .kernarg_segment_size: 104
    .language:       OpenCL C
    .language_version:
      - 2
      - 0
    .max_flat_workgroup_size: 32
    .name:           _ZN9rocsparseL29gebsrmm_small_blockdim_kernelILi2ELi1ELi2ELi16EfEEv20rocsparse_direction_20rocsparse_operation_iiNS_24const_host_device_scalarIT3_EEPKiS7_PKS4_iiS9_lS5_PS4_l21rocsparse_index_base_b
    .private_segment_fixed_size: 0
    .sgpr_count:     44
    .sgpr_spill_count: 0
    .symbol:         _ZN9rocsparseL29gebsrmm_small_blockdim_kernelILi2ELi1ELi2ELi16EfEEv20rocsparse_direction_20rocsparse_operation_iiNS_24const_host_device_scalarIT3_EEPKiS7_PKS4_iiS9_lS5_PS4_l21rocsparse_index_base_b.kd
    .uniform_work_group_size: 1
    .uses_dynamic_stack: false
    .vgpr_count:     16
    .vgpr_spill_count: 0
    .wavefront_size: 64
  - .agpr_count:     0
    .args:
      - .offset:         0
        .size:           4
        .value_kind:     by_value
      - .offset:         4
        .size:           4
        .value_kind:     by_value
      - .offset:         8
        .size:           4
        .value_kind:     by_value
      - .offset:         12
        .size:           4
        .value_kind:     by_value
      - .offset:         16
        .size:           8
        .value_kind:     by_value
      - .actual_access:  read_only
        .address_space:  global
        .offset:         24
        .size:           8
        .value_kind:     global_buffer
      - .actual_access:  read_only
        .address_space:  global
        .offset:         32
        .size:           8
        .value_kind:     global_buffer
      - .actual_access:  read_only
        .address_space:  global
        .offset:         40
        .size:           8
        .value_kind:     global_buffer
      - .offset:         48
        .size:           4
        .value_kind:     by_value
      - .offset:         52
        .size:           4
        .value_kind:     by_value
      - .actual_access:  read_only
        .address_space:  global
        .offset:         56
        .size:           8
        .value_kind:     global_buffer
      - .offset:         64
        .size:           8
        .value_kind:     by_value
      - .offset:         72
        .size:           8
        .value_kind:     by_value
      - .address_space:  global
        .offset:         80
        .size:           8
        .value_kind:     global_buffer
      - .offset:         88
        .size:           8
        .value_kind:     by_value
      - .offset:         96
        .size:           4
        .value_kind:     by_value
      - .offset:         100
        .size:           1
        .value_kind:     by_value
    .group_segment_fixed_size: 228
    .kernarg_segment_align: 8
    .kernarg_segment_size: 104
    .language:       OpenCL C
    .language_version:
      - 2
      - 0
    .max_flat_workgroup_size: 48
    .name:           _ZN9rocsparseL29gebsrmm_small_blockdim_kernelILi2ELi3ELi3ELi16EfEEv20rocsparse_direction_20rocsparse_operation_iiNS_24const_host_device_scalarIT3_EEPKiS7_PKS4_iiS9_lS5_PS4_l21rocsparse_index_base_b
    .private_segment_fixed_size: 0
    .sgpr_count:     46
    .sgpr_spill_count: 0
    .symbol:         _ZN9rocsparseL29gebsrmm_small_blockdim_kernelILi2ELi3ELi3ELi16EfEEv20rocsparse_direction_20rocsparse_operation_iiNS_24const_host_device_scalarIT3_EEPKiS7_PKS4_iiS9_lS5_PS4_l21rocsparse_index_base_b.kd
    .uniform_work_group_size: 1
    .uses_dynamic_stack: false
    .vgpr_count:     20
    .vgpr_spill_count: 0
    .wavefront_size: 64
  - .agpr_count:     0
    .args:
      - .offset:         0
        .size:           4
        .value_kind:     by_value
      - .offset:         4
        .size:           4
        .value_kind:     by_value
      - .offset:         8
        .size:           4
        .value_kind:     by_value
      - .offset:         12
        .size:           4
        .value_kind:     by_value
      - .offset:         16
        .size:           8
        .value_kind:     by_value
      - .actual_access:  read_only
        .address_space:  global
        .offset:         24
        .size:           8
        .value_kind:     global_buffer
      - .actual_access:  read_only
        .address_space:  global
        .offset:         32
        .size:           8
        .value_kind:     global_buffer
      - .actual_access:  read_only
        .address_space:  global
        .offset:         40
        .size:           8
        .value_kind:     global_buffer
      - .offset:         48
        .size:           4
        .value_kind:     by_value
      - .offset:         52
        .size:           4
        .value_kind:     by_value
      - .actual_access:  read_only
        .address_space:  global
        .offset:         56
        .size:           8
        .value_kind:     global_buffer
      - .offset:         64
        .size:           8
        .value_kind:     by_value
      - .offset:         72
        .size:           8
        .value_kind:     by_value
      - .address_space:  global
        .offset:         80
        .size:           8
        .value_kind:     global_buffer
      - .offset:         88
        .size:           8
        .value_kind:     by_value
      - .offset:         96
        .size:           4
        .value_kind:     by_value
      - .offset:         100
        .size:           1
        .value_kind:     by_value
    .group_segment_fixed_size: 320
    .kernarg_segment_align: 8
    .kernarg_segment_size: 104
    .language:       OpenCL C
    .language_version:
      - 2
      - 0
    .max_flat_workgroup_size: 64
    .name:           _ZN9rocsparseL29gebsrmm_small_blockdim_kernelILi2ELi4ELi4ELi16EfEEv20rocsparse_direction_20rocsparse_operation_iiNS_24const_host_device_scalarIT3_EEPKiS7_PKS4_iiS9_lS5_PS4_l21rocsparse_index_base_b
    .private_segment_fixed_size: 0
    .sgpr_count:     44
    .sgpr_spill_count: 0
    .symbol:         _ZN9rocsparseL29gebsrmm_small_blockdim_kernelILi2ELi4ELi4ELi16EfEEv20rocsparse_direction_20rocsparse_operation_iiNS_24const_host_device_scalarIT3_EEPKiS7_PKS4_iiS9_lS5_PS4_l21rocsparse_index_base_b.kd
    .uniform_work_group_size: 1
    .uses_dynamic_stack: false
    .vgpr_count:     22
    .vgpr_spill_count: 0
    .wavefront_size: 64
  - .agpr_count:     0
    .args:
      - .offset:         0
        .size:           4
        .value_kind:     by_value
      - .offset:         4
        .size:           4
        .value_kind:     by_value
      - .offset:         8
        .size:           4
        .value_kind:     by_value
      - .offset:         12
        .size:           4
        .value_kind:     by_value
      - .offset:         16
        .size:           8
        .value_kind:     by_value
      - .actual_access:  read_only
        .address_space:  global
        .offset:         24
        .size:           8
        .value_kind:     global_buffer
      - .actual_access:  read_only
        .address_space:  global
        .offset:         32
        .size:           8
        .value_kind:     global_buffer
      - .actual_access:  read_only
        .address_space:  global
        .offset:         40
        .size:           8
        .value_kind:     global_buffer
      - .offset:         48
        .size:           4
        .value_kind:     by_value
      - .offset:         52
        .size:           4
        .value_kind:     by_value
      - .actual_access:  read_only
        .address_space:  global
        .offset:         56
        .size:           8
        .value_kind:     global_buffer
      - .offset:         64
        .size:           8
        .value_kind:     by_value
      - .offset:         72
        .size:           8
        .value_kind:     by_value
      - .address_space:  global
        .offset:         80
        .size:           8
        .value_kind:     global_buffer
      - .offset:         88
        .size:           8
        .value_kind:     by_value
      - .offset:         96
        .size:           4
        .value_kind:     by_value
      - .offset:         100
        .size:           1
        .value_kind:     by_value
    .group_segment_fixed_size: 228
    .kernarg_segment_align: 8
    .kernarg_segment_size: 104
    .language:       OpenCL C
    .language_version:
      - 2
      - 0
    .max_flat_workgroup_size: 48
    .name:           _ZN9rocsparseL29gebsrmm_small_blockdim_kernelILi3ELi1ELi3ELi16EfEEv20rocsparse_direction_20rocsparse_operation_iiNS_24const_host_device_scalarIT3_EEPKiS7_PKS4_iiS9_lS5_PS4_l21rocsparse_index_base_b
    .private_segment_fixed_size: 0
    .sgpr_count:     44
    .sgpr_spill_count: 0
    .symbol:         _ZN9rocsparseL29gebsrmm_small_blockdim_kernelILi3ELi1ELi3ELi16EfEEv20rocsparse_direction_20rocsparse_operation_iiNS_24const_host_device_scalarIT3_EEPKiS7_PKS4_iiS9_lS5_PS4_l21rocsparse_index_base_b.kd
    .uniform_work_group_size: 1
    .uses_dynamic_stack: false
    .vgpr_count:     16
    .vgpr_spill_count: 0
    .wavefront_size: 64
  - .agpr_count:     0
    .args:
      - .offset:         0
        .size:           4
        .value_kind:     by_value
      - .offset:         4
        .size:           4
        .value_kind:     by_value
      - .offset:         8
        .size:           4
        .value_kind:     by_value
      - .offset:         12
        .size:           4
        .value_kind:     by_value
      - .offset:         16
        .size:           8
        .value_kind:     by_value
      - .actual_access:  read_only
        .address_space:  global
        .offset:         24
        .size:           8
        .value_kind:     global_buffer
      - .actual_access:  read_only
        .address_space:  global
        .offset:         32
        .size:           8
        .value_kind:     global_buffer
      - .actual_access:  read_only
        .address_space:  global
        .offset:         40
        .size:           8
        .value_kind:     global_buffer
      - .offset:         48
        .size:           4
        .value_kind:     by_value
      - .offset:         52
        .size:           4
        .value_kind:     by_value
      - .actual_access:  read_only
        .address_space:  global
        .offset:         56
        .size:           8
        .value_kind:     global_buffer
      - .offset:         64
        .size:           8
        .value_kind:     by_value
      - .offset:         72
        .size:           8
        .value_kind:     by_value
      - .address_space:  global
        .offset:         80
        .size:           8
        .value_kind:     global_buffer
      - .offset:         88
        .size:           8
        .value_kind:     by_value
      - .offset:         96
        .size:           4
        .value_kind:     by_value
      - .offset:         100
        .size:           1
        .value_kind:     by_value
    .group_segment_fixed_size: 228
    .kernarg_segment_align: 8
    .kernarg_segment_size: 104
    .language:       OpenCL C
    .language_version:
      - 2
      - 0
    .max_flat_workgroup_size: 48
    .name:           _ZN9rocsparseL29gebsrmm_small_blockdim_kernelILi3ELi2ELi3ELi16EfEEv20rocsparse_direction_20rocsparse_operation_iiNS_24const_host_device_scalarIT3_EEPKiS7_PKS4_iiS9_lS5_PS4_l21rocsparse_index_base_b
    .private_segment_fixed_size: 0
    .sgpr_count:     46
    .sgpr_spill_count: 0
    .symbol:         _ZN9rocsparseL29gebsrmm_small_blockdim_kernelILi3ELi2ELi3ELi16EfEEv20rocsparse_direction_20rocsparse_operation_iiNS_24const_host_device_scalarIT3_EEPKiS7_PKS4_iiS9_lS5_PS4_l21rocsparse_index_base_b.kd
    .uniform_work_group_size: 1
    .uses_dynamic_stack: false
    .vgpr_count:     18
    .vgpr_spill_count: 0
    .wavefront_size: 64
  - .agpr_count:     0
    .args:
      - .offset:         0
        .size:           4
        .value_kind:     by_value
      - .offset:         4
        .size:           4
        .value_kind:     by_value
      - .offset:         8
        .size:           4
        .value_kind:     by_value
      - .offset:         12
        .size:           4
        .value_kind:     by_value
      - .offset:         16
        .size:           8
        .value_kind:     by_value
      - .actual_access:  read_only
        .address_space:  global
        .offset:         24
        .size:           8
        .value_kind:     global_buffer
      - .actual_access:  read_only
        .address_space:  global
        .offset:         32
        .size:           8
        .value_kind:     global_buffer
      - .actual_access:  read_only
        .address_space:  global
        .offset:         40
        .size:           8
        .value_kind:     global_buffer
      - .offset:         48
        .size:           4
        .value_kind:     by_value
      - .offset:         52
        .size:           4
        .value_kind:     by_value
      - .actual_access:  read_only
        .address_space:  global
        .offset:         56
        .size:           8
        .value_kind:     global_buffer
      - .offset:         64
        .size:           8
        .value_kind:     by_value
      - .offset:         72
        .size:           8
        .value_kind:     by_value
      - .address_space:  global
        .offset:         80
        .size:           8
        .value_kind:     global_buffer
      - .offset:         88
        .size:           8
        .value_kind:     by_value
      - .offset:         96
        .size:           4
        .value_kind:     by_value
      - .offset:         100
        .size:           1
        .value_kind:     by_value
    .group_segment_fixed_size: 320
    .kernarg_segment_align: 8
    .kernarg_segment_size: 104
    .language:       OpenCL C
    .language_version:
      - 2
      - 0
    .max_flat_workgroup_size: 64
    .name:           _ZN9rocsparseL29gebsrmm_small_blockdim_kernelILi3ELi4ELi4ELi16EfEEv20rocsparse_direction_20rocsparse_operation_iiNS_24const_host_device_scalarIT3_EEPKiS7_PKS4_iiS9_lS5_PS4_l21rocsparse_index_base_b
    .private_segment_fixed_size: 0
    .sgpr_count:     46
    .sgpr_spill_count: 0
    .symbol:         _ZN9rocsparseL29gebsrmm_small_blockdim_kernelILi3ELi4ELi4ELi16EfEEv20rocsparse_direction_20rocsparse_operation_iiNS_24const_host_device_scalarIT3_EEPKiS7_PKS4_iiS9_lS5_PS4_l21rocsparse_index_base_b.kd
    .uniform_work_group_size: 1
    .uses_dynamic_stack: false
    .vgpr_count:     22
    .vgpr_spill_count: 0
    .wavefront_size: 64
  - .agpr_count:     0
    .args:
      - .offset:         0
        .size:           4
        .value_kind:     by_value
      - .offset:         4
        .size:           4
        .value_kind:     by_value
      - .offset:         8
        .size:           4
        .value_kind:     by_value
      - .offset:         12
        .size:           4
        .value_kind:     by_value
      - .offset:         16
        .size:           8
        .value_kind:     by_value
      - .actual_access:  read_only
        .address_space:  global
        .offset:         24
        .size:           8
        .value_kind:     global_buffer
      - .actual_access:  read_only
        .address_space:  global
        .offset:         32
        .size:           8
        .value_kind:     global_buffer
      - .actual_access:  read_only
        .address_space:  global
        .offset:         40
        .size:           8
        .value_kind:     global_buffer
      - .offset:         48
        .size:           4
        .value_kind:     by_value
      - .offset:         52
        .size:           4
        .value_kind:     by_value
      - .actual_access:  read_only
        .address_space:  global
        .offset:         56
        .size:           8
        .value_kind:     global_buffer
      - .offset:         64
        .size:           8
        .value_kind:     by_value
      - .offset:         72
        .size:           8
        .value_kind:     by_value
      - .address_space:  global
        .offset:         80
        .size:           8
        .value_kind:     global_buffer
      - .offset:         88
        .size:           8
        .value_kind:     by_value
      - .offset:         96
        .size:           4
        .value_kind:     by_value
      - .offset:         100
        .size:           1
        .value_kind:     by_value
    .group_segment_fixed_size: 320
    .kernarg_segment_align: 8
    .kernarg_segment_size: 104
    .language:       OpenCL C
    .language_version:
      - 2
      - 0
    .max_flat_workgroup_size: 64
    .name:           _ZN9rocsparseL29gebsrmm_small_blockdim_kernelILi4ELi1ELi4ELi16EfEEv20rocsparse_direction_20rocsparse_operation_iiNS_24const_host_device_scalarIT3_EEPKiS7_PKS4_iiS9_lS5_PS4_l21rocsparse_index_base_b
    .private_segment_fixed_size: 0
    .sgpr_count:     44
    .sgpr_spill_count: 0
    .symbol:         _ZN9rocsparseL29gebsrmm_small_blockdim_kernelILi4ELi1ELi4ELi16EfEEv20rocsparse_direction_20rocsparse_operation_iiNS_24const_host_device_scalarIT3_EEPKiS7_PKS4_iiS9_lS5_PS4_l21rocsparse_index_base_b.kd
    .uniform_work_group_size: 1
    .uses_dynamic_stack: false
    .vgpr_count:     16
    .vgpr_spill_count: 0
    .wavefront_size: 64
  - .agpr_count:     0
    .args:
      - .offset:         0
        .size:           4
        .value_kind:     by_value
      - .offset:         4
        .size:           4
        .value_kind:     by_value
      - .offset:         8
        .size:           4
        .value_kind:     by_value
      - .offset:         12
        .size:           4
        .value_kind:     by_value
      - .offset:         16
        .size:           8
        .value_kind:     by_value
      - .actual_access:  read_only
        .address_space:  global
        .offset:         24
        .size:           8
        .value_kind:     global_buffer
      - .actual_access:  read_only
        .address_space:  global
        .offset:         32
        .size:           8
        .value_kind:     global_buffer
      - .actual_access:  read_only
        .address_space:  global
        .offset:         40
        .size:           8
        .value_kind:     global_buffer
      - .offset:         48
        .size:           4
        .value_kind:     by_value
      - .offset:         52
        .size:           4
        .value_kind:     by_value
      - .actual_access:  read_only
        .address_space:  global
        .offset:         56
        .size:           8
        .value_kind:     global_buffer
      - .offset:         64
        .size:           8
        .value_kind:     by_value
      - .offset:         72
        .size:           8
        .value_kind:     by_value
      - .address_space:  global
        .offset:         80
        .size:           8
        .value_kind:     global_buffer
      - .offset:         88
        .size:           8
        .value_kind:     by_value
      - .offset:         96
        .size:           4
        .value_kind:     by_value
      - .offset:         100
        .size:           1
        .value_kind:     by_value
    .group_segment_fixed_size: 320
    .kernarg_segment_align: 8
    .kernarg_segment_size: 104
    .language:       OpenCL C
    .language_version:
      - 2
      - 0
    .max_flat_workgroup_size: 64
    .name:           _ZN9rocsparseL29gebsrmm_small_blockdim_kernelILi4ELi2ELi4ELi16EfEEv20rocsparse_direction_20rocsparse_operation_iiNS_24const_host_device_scalarIT3_EEPKiS7_PKS4_iiS9_lS5_PS4_l21rocsparse_index_base_b
    .private_segment_fixed_size: 0
    .sgpr_count:     44
    .sgpr_spill_count: 0
    .symbol:         _ZN9rocsparseL29gebsrmm_small_blockdim_kernelILi4ELi2ELi4ELi16EfEEv20rocsparse_direction_20rocsparse_operation_iiNS_24const_host_device_scalarIT3_EEPKiS7_PKS4_iiS9_lS5_PS4_l21rocsparse_index_base_b.kd
    .uniform_work_group_size: 1
    .uses_dynamic_stack: false
    .vgpr_count:     18
    .vgpr_spill_count: 0
    .wavefront_size: 64
  - .agpr_count:     0
    .args:
      - .offset:         0
        .size:           4
        .value_kind:     by_value
      - .offset:         4
        .size:           4
        .value_kind:     by_value
      - .offset:         8
        .size:           4
        .value_kind:     by_value
      - .offset:         12
        .size:           4
        .value_kind:     by_value
      - .offset:         16
        .size:           8
        .value_kind:     by_value
      - .actual_access:  read_only
        .address_space:  global
        .offset:         24
        .size:           8
        .value_kind:     global_buffer
      - .actual_access:  read_only
        .address_space:  global
        .offset:         32
        .size:           8
        .value_kind:     global_buffer
      - .actual_access:  read_only
        .address_space:  global
        .offset:         40
        .size:           8
        .value_kind:     global_buffer
      - .offset:         48
        .size:           4
        .value_kind:     by_value
      - .offset:         52
        .size:           4
        .value_kind:     by_value
      - .actual_access:  read_only
        .address_space:  global
        .offset:         56
        .size:           8
        .value_kind:     global_buffer
      - .offset:         64
        .size:           8
        .value_kind:     by_value
      - .offset:         72
        .size:           8
        .value_kind:     by_value
      - .address_space:  global
        .offset:         80
        .size:           8
        .value_kind:     global_buffer
      - .offset:         88
        .size:           8
        .value_kind:     by_value
      - .offset:         96
        .size:           4
        .value_kind:     by_value
      - .offset:         100
        .size:           1
        .value_kind:     by_value
    .group_segment_fixed_size: 320
    .kernarg_segment_align: 8
    .kernarg_segment_size: 104
    .language:       OpenCL C
    .language_version:
      - 2
      - 0
    .max_flat_workgroup_size: 64
    .name:           _ZN9rocsparseL29gebsrmm_small_blockdim_kernelILi4ELi3ELi4ELi16EfEEv20rocsparse_direction_20rocsparse_operation_iiNS_24const_host_device_scalarIT3_EEPKiS7_PKS4_iiS9_lS5_PS4_l21rocsparse_index_base_b
    .private_segment_fixed_size: 0
    .sgpr_count:     46
    .sgpr_spill_count: 0
    .symbol:         _ZN9rocsparseL29gebsrmm_small_blockdim_kernelILi4ELi3ELi4ELi16EfEEv20rocsparse_direction_20rocsparse_operation_iiNS_24const_host_device_scalarIT3_EEPKiS7_PKS4_iiS9_lS5_PS4_l21rocsparse_index_base_b.kd
    .uniform_work_group_size: 1
    .uses_dynamic_stack: false
    .vgpr_count:     20
    .vgpr_spill_count: 0
    .wavefront_size: 64
  - .agpr_count:     0
    .args:
      - .offset:         0
        .size:           4
        .value_kind:     by_value
      - .offset:         4
        .size:           4
        .value_kind:     by_value
      - .offset:         8
        .size:           4
        .value_kind:     by_value
      - .offset:         12
        .size:           4
        .value_kind:     by_value
      - .offset:         16
        .size:           8
        .value_kind:     by_value
      - .actual_access:  read_only
        .address_space:  global
        .offset:         24
        .size:           8
        .value_kind:     global_buffer
      - .actual_access:  read_only
        .address_space:  global
        .offset:         32
        .size:           8
        .value_kind:     global_buffer
      - .actual_access:  read_only
        .address_space:  global
        .offset:         40
        .size:           8
        .value_kind:     global_buffer
      - .offset:         48
        .size:           4
        .value_kind:     by_value
      - .offset:         52
        .size:           4
        .value_kind:     by_value
      - .actual_access:  read_only
        .address_space:  global
        .offset:         56
        .size:           8
        .value_kind:     global_buffer
      - .offset:         64
        .size:           8
        .value_kind:     by_value
      - .offset:         72
        .size:           8
        .value_kind:     by_value
      - .address_space:  global
        .offset:         80
        .size:           8
        .value_kind:     global_buffer
      - .offset:         88
        .size:           8
        .value_kind:     by_value
      - .offset:         96
        .size:           4
        .value_kind:     by_value
      - .offset:         100
        .size:           1
        .value_kind:     by_value
    .group_segment_fixed_size: 288
    .kernarg_segment_align: 8
    .kernarg_segment_size: 104
    .language:       OpenCL C
    .language_version:
      - 2
      - 0
    .max_flat_workgroup_size: 32
    .name:           _ZN9rocsparseL29gebsrmm_small_blockdim_kernelILi1ELi2ELi2ELi16EdEEv20rocsparse_direction_20rocsparse_operation_iiNS_24const_host_device_scalarIT3_EEPKiS7_PKS4_iiS9_lS5_PS4_l21rocsparse_index_base_b
    .private_segment_fixed_size: 0
    .sgpr_count:     40
    .sgpr_spill_count: 0
    .symbol:         _ZN9rocsparseL29gebsrmm_small_blockdim_kernelILi1ELi2ELi2ELi16EdEEv20rocsparse_direction_20rocsparse_operation_iiNS_24const_host_device_scalarIT3_EEPKiS7_PKS4_iiS9_lS5_PS4_l21rocsparse_index_base_b.kd
    .uniform_work_group_size: 1
    .uses_dynamic_stack: false
    .vgpr_count:     32
    .vgpr_spill_count: 0
    .wavefront_size: 64
  - .agpr_count:     0
    .args:
      - .offset:         0
        .size:           4
        .value_kind:     by_value
      - .offset:         4
        .size:           4
        .value_kind:     by_value
      - .offset:         8
        .size:           4
        .value_kind:     by_value
      - .offset:         12
        .size:           4
        .value_kind:     by_value
      - .offset:         16
        .size:           8
        .value_kind:     by_value
      - .actual_access:  read_only
        .address_space:  global
        .offset:         24
        .size:           8
        .value_kind:     global_buffer
      - .actual_access:  read_only
        .address_space:  global
        .offset:         32
        .size:           8
        .value_kind:     global_buffer
      - .actual_access:  read_only
        .address_space:  global
        .offset:         40
        .size:           8
        .value_kind:     global_buffer
      - .offset:         48
        .size:           4
        .value_kind:     by_value
      - .offset:         52
        .size:           4
        .value_kind:     by_value
      - .actual_access:  read_only
        .address_space:  global
        .offset:         56
        .size:           8
        .value_kind:     global_buffer
      - .offset:         64
        .size:           8
        .value_kind:     by_value
      - .offset:         72
        .size:           8
        .value_kind:     by_value
      - .address_space:  global
        .offset:         80
        .size:           8
        .value_kind:     global_buffer
      - .offset:         88
        .size:           8
        .value_kind:     by_value
      - .offset:         96
        .size:           4
        .value_kind:     by_value
      - .offset:         100
        .size:           1
        .value_kind:     by_value
    .group_segment_fixed_size: 456
    .kernarg_segment_align: 8
    .kernarg_segment_size: 104
    .language:       OpenCL C
    .language_version:
      - 2
      - 0
    .max_flat_workgroup_size: 48
    .name:           _ZN9rocsparseL29gebsrmm_small_blockdim_kernelILi1ELi3ELi3ELi16EdEEv20rocsparse_direction_20rocsparse_operation_iiNS_24const_host_device_scalarIT3_EEPKiS7_PKS4_iiS9_lS5_PS4_l21rocsparse_index_base_b
    .private_segment_fixed_size: 0
    .sgpr_count:     40
    .sgpr_spill_count: 0
    .symbol:         _ZN9rocsparseL29gebsrmm_small_blockdim_kernelILi1ELi3ELi3ELi16EdEEv20rocsparse_direction_20rocsparse_operation_iiNS_24const_host_device_scalarIT3_EEPKiS7_PKS4_iiS9_lS5_PS4_l21rocsparse_index_base_b.kd
    .uniform_work_group_size: 1
    .uses_dynamic_stack: false
    .vgpr_count:     34
    .vgpr_spill_count: 0
    .wavefront_size: 64
  - .agpr_count:     0
    .args:
      - .offset:         0
        .size:           4
        .value_kind:     by_value
      - .offset:         4
        .size:           4
        .value_kind:     by_value
      - .offset:         8
        .size:           4
        .value_kind:     by_value
      - .offset:         12
        .size:           4
        .value_kind:     by_value
      - .offset:         16
        .size:           8
        .value_kind:     by_value
      - .actual_access:  read_only
        .address_space:  global
        .offset:         24
        .size:           8
        .value_kind:     global_buffer
      - .actual_access:  read_only
        .address_space:  global
        .offset:         32
        .size:           8
        .value_kind:     global_buffer
      - .actual_access:  read_only
        .address_space:  global
        .offset:         40
        .size:           8
        .value_kind:     global_buffer
      - .offset:         48
        .size:           4
        .value_kind:     by_value
      - .offset:         52
        .size:           4
        .value_kind:     by_value
      - .actual_access:  read_only
        .address_space:  global
        .offset:         56
        .size:           8
        .value_kind:     global_buffer
      - .offset:         64
        .size:           8
        .value_kind:     by_value
      - .offset:         72
        .size:           8
        .value_kind:     by_value
      - .address_space:  global
        .offset:         80
        .size:           8
        .value_kind:     global_buffer
      - .offset:         88
        .size:           8
        .value_kind:     by_value
      - .offset:         96
        .size:           4
        .value_kind:     by_value
      - .offset:         100
        .size:           1
        .value_kind:     by_value
    .group_segment_fixed_size: 640
    .kernarg_segment_align: 8
    .kernarg_segment_size: 104
    .language:       OpenCL C
    .language_version:
      - 2
      - 0
    .max_flat_workgroup_size: 64
    .name:           _ZN9rocsparseL29gebsrmm_small_blockdim_kernelILi1ELi4ELi4ELi16EdEEv20rocsparse_direction_20rocsparse_operation_iiNS_24const_host_device_scalarIT3_EEPKiS7_PKS4_iiS9_lS5_PS4_l21rocsparse_index_base_b
    .private_segment_fixed_size: 0
    .sgpr_count:     40
    .sgpr_spill_count: 0
    .symbol:         _ZN9rocsparseL29gebsrmm_small_blockdim_kernelILi1ELi4ELi4ELi16EdEEv20rocsparse_direction_20rocsparse_operation_iiNS_24const_host_device_scalarIT3_EEPKiS7_PKS4_iiS9_lS5_PS4_l21rocsparse_index_base_b.kd
    .uniform_work_group_size: 1
    .uses_dynamic_stack: false
    .vgpr_count:     40
    .vgpr_spill_count: 0
    .wavefront_size: 64
  - .agpr_count:     0
    .args:
      - .offset:         0
        .size:           4
        .value_kind:     by_value
      - .offset:         4
        .size:           4
        .value_kind:     by_value
      - .offset:         8
        .size:           4
        .value_kind:     by_value
      - .offset:         12
        .size:           4
        .value_kind:     by_value
      - .offset:         16
        .size:           8
        .value_kind:     by_value
      - .actual_access:  read_only
        .address_space:  global
        .offset:         24
        .size:           8
        .value_kind:     global_buffer
      - .actual_access:  read_only
        .address_space:  global
        .offset:         32
        .size:           8
        .value_kind:     global_buffer
      - .actual_access:  read_only
        .address_space:  global
        .offset:         40
        .size:           8
        .value_kind:     global_buffer
      - .offset:         48
        .size:           4
        .value_kind:     by_value
      - .offset:         52
        .size:           4
        .value_kind:     by_value
      - .actual_access:  read_only
        .address_space:  global
        .offset:         56
        .size:           8
        .value_kind:     global_buffer
      - .offset:         64
        .size:           8
        .value_kind:     by_value
      - .offset:         72
        .size:           8
        .value_kind:     by_value
      - .address_space:  global
        .offset:         80
        .size:           8
        .value_kind:     global_buffer
      - .offset:         88
        .size:           8
        .value_kind:     by_value
      - .offset:         96
        .size:           4
        .value_kind:     by_value
      - .offset:         100
        .size:           1
        .value_kind:     by_value
    .group_segment_fixed_size: 288
    .kernarg_segment_align: 8
    .kernarg_segment_size: 104
    .language:       OpenCL C
    .language_version:
      - 2
      - 0
    .max_flat_workgroup_size: 32
    .name:           _ZN9rocsparseL29gebsrmm_small_blockdim_kernelILi2ELi1ELi2ELi16EdEEv20rocsparse_direction_20rocsparse_operation_iiNS_24const_host_device_scalarIT3_EEPKiS7_PKS4_iiS9_lS5_PS4_l21rocsparse_index_base_b
    .private_segment_fixed_size: 0
    .sgpr_count:     40
    .sgpr_spill_count: 0
    .symbol:         _ZN9rocsparseL29gebsrmm_small_blockdim_kernelILi2ELi1ELi2ELi16EdEEv20rocsparse_direction_20rocsparse_operation_iiNS_24const_host_device_scalarIT3_EEPKiS7_PKS4_iiS9_lS5_PS4_l21rocsparse_index_base_b.kd
    .uniform_work_group_size: 1
    .uses_dynamic_stack: false
    .vgpr_count:     26
    .vgpr_spill_count: 0
    .wavefront_size: 64
  - .agpr_count:     0
    .args:
      - .offset:         0
        .size:           4
        .value_kind:     by_value
      - .offset:         4
        .size:           4
        .value_kind:     by_value
      - .offset:         8
        .size:           4
        .value_kind:     by_value
      - .offset:         12
        .size:           4
        .value_kind:     by_value
      - .offset:         16
        .size:           8
        .value_kind:     by_value
      - .actual_access:  read_only
        .address_space:  global
        .offset:         24
        .size:           8
        .value_kind:     global_buffer
      - .actual_access:  read_only
        .address_space:  global
        .offset:         32
        .size:           8
        .value_kind:     global_buffer
      - .actual_access:  read_only
        .address_space:  global
        .offset:         40
        .size:           8
        .value_kind:     global_buffer
      - .offset:         48
        .size:           4
        .value_kind:     by_value
      - .offset:         52
        .size:           4
        .value_kind:     by_value
      - .actual_access:  read_only
        .address_space:  global
        .offset:         56
        .size:           8
        .value_kind:     global_buffer
      - .offset:         64
        .size:           8
        .value_kind:     by_value
      - .offset:         72
        .size:           8
        .value_kind:     by_value
      - .address_space:  global
        .offset:         80
        .size:           8
        .value_kind:     global_buffer
      - .offset:         88
        .size:           8
        .value_kind:     by_value
      - .offset:         96
        .size:           4
        .value_kind:     by_value
      - .offset:         100
        .size:           1
        .value_kind:     by_value
    .group_segment_fixed_size: 456
    .kernarg_segment_align: 8
    .kernarg_segment_size: 104
    .language:       OpenCL C
    .language_version:
      - 2
      - 0
    .max_flat_workgroup_size: 48
    .name:           _ZN9rocsparseL29gebsrmm_small_blockdim_kernelILi2ELi3ELi3ELi16EdEEv20rocsparse_direction_20rocsparse_operation_iiNS_24const_host_device_scalarIT3_EEPKiS7_PKS4_iiS9_lS5_PS4_l21rocsparse_index_base_b
    .private_segment_fixed_size: 0
    .sgpr_count:     42
    .sgpr_spill_count: 0
    .symbol:         _ZN9rocsparseL29gebsrmm_small_blockdim_kernelILi2ELi3ELi3ELi16EdEEv20rocsparse_direction_20rocsparse_operation_iiNS_24const_host_device_scalarIT3_EEPKiS7_PKS4_iiS9_lS5_PS4_l21rocsparse_index_base_b.kd
    .uniform_work_group_size: 1
    .uses_dynamic_stack: false
    .vgpr_count:     34
    .vgpr_spill_count: 0
    .wavefront_size: 64
  - .agpr_count:     0
    .args:
      - .offset:         0
        .size:           4
        .value_kind:     by_value
      - .offset:         4
        .size:           4
        .value_kind:     by_value
      - .offset:         8
        .size:           4
        .value_kind:     by_value
      - .offset:         12
        .size:           4
        .value_kind:     by_value
      - .offset:         16
        .size:           8
        .value_kind:     by_value
      - .actual_access:  read_only
        .address_space:  global
        .offset:         24
        .size:           8
        .value_kind:     global_buffer
      - .actual_access:  read_only
        .address_space:  global
        .offset:         32
        .size:           8
        .value_kind:     global_buffer
      - .actual_access:  read_only
        .address_space:  global
        .offset:         40
        .size:           8
        .value_kind:     global_buffer
      - .offset:         48
        .size:           4
        .value_kind:     by_value
      - .offset:         52
        .size:           4
        .value_kind:     by_value
      - .actual_access:  read_only
        .address_space:  global
        .offset:         56
        .size:           8
        .value_kind:     global_buffer
      - .offset:         64
        .size:           8
        .value_kind:     by_value
      - .offset:         72
        .size:           8
        .value_kind:     by_value
      - .address_space:  global
        .offset:         80
        .size:           8
        .value_kind:     global_buffer
      - .offset:         88
        .size:           8
        .value_kind:     by_value
      - .offset:         96
        .size:           4
        .value_kind:     by_value
      - .offset:         100
        .size:           1
        .value_kind:     by_value
    .group_segment_fixed_size: 640
    .kernarg_segment_align: 8
    .kernarg_segment_size: 104
    .language:       OpenCL C
    .language_version:
      - 2
      - 0
    .max_flat_workgroup_size: 64
    .name:           _ZN9rocsparseL29gebsrmm_small_blockdim_kernelILi2ELi4ELi4ELi16EdEEv20rocsparse_direction_20rocsparse_operation_iiNS_24const_host_device_scalarIT3_EEPKiS7_PKS4_iiS9_lS5_PS4_l21rocsparse_index_base_b
    .private_segment_fixed_size: 0
    .sgpr_count:     40
    .sgpr_spill_count: 0
    .symbol:         _ZN9rocsparseL29gebsrmm_small_blockdim_kernelILi2ELi4ELi4ELi16EdEEv20rocsparse_direction_20rocsparse_operation_iiNS_24const_host_device_scalarIT3_EEPKiS7_PKS4_iiS9_lS5_PS4_l21rocsparse_index_base_b.kd
    .uniform_work_group_size: 1
    .uses_dynamic_stack: false
    .vgpr_count:     40
    .vgpr_spill_count: 0
    .wavefront_size: 64
  - .agpr_count:     0
    .args:
      - .offset:         0
        .size:           4
        .value_kind:     by_value
      - .offset:         4
        .size:           4
        .value_kind:     by_value
      - .offset:         8
        .size:           4
        .value_kind:     by_value
      - .offset:         12
        .size:           4
        .value_kind:     by_value
      - .offset:         16
        .size:           8
        .value_kind:     by_value
      - .actual_access:  read_only
        .address_space:  global
        .offset:         24
        .size:           8
        .value_kind:     global_buffer
      - .actual_access:  read_only
        .address_space:  global
        .offset:         32
        .size:           8
        .value_kind:     global_buffer
      - .actual_access:  read_only
        .address_space:  global
        .offset:         40
        .size:           8
        .value_kind:     global_buffer
      - .offset:         48
        .size:           4
        .value_kind:     by_value
      - .offset:         52
        .size:           4
        .value_kind:     by_value
      - .actual_access:  read_only
        .address_space:  global
        .offset:         56
        .size:           8
        .value_kind:     global_buffer
      - .offset:         64
        .size:           8
        .value_kind:     by_value
      - .offset:         72
        .size:           8
        .value_kind:     by_value
      - .address_space:  global
        .offset:         80
        .size:           8
        .value_kind:     global_buffer
      - .offset:         88
        .size:           8
        .value_kind:     by_value
      - .offset:         96
        .size:           4
        .value_kind:     by_value
      - .offset:         100
        .size:           1
        .value_kind:     by_value
    .group_segment_fixed_size: 456
    .kernarg_segment_align: 8
    .kernarg_segment_size: 104
    .language:       OpenCL C
    .language_version:
      - 2
      - 0
    .max_flat_workgroup_size: 48
    .name:           _ZN9rocsparseL29gebsrmm_small_blockdim_kernelILi3ELi1ELi3ELi16EdEEv20rocsparse_direction_20rocsparse_operation_iiNS_24const_host_device_scalarIT3_EEPKiS7_PKS4_iiS9_lS5_PS4_l21rocsparse_index_base_b
    .private_segment_fixed_size: 0
    .sgpr_count:     40
    .sgpr_spill_count: 0
    .symbol:         _ZN9rocsparseL29gebsrmm_small_blockdim_kernelILi3ELi1ELi3ELi16EdEEv20rocsparse_direction_20rocsparse_operation_iiNS_24const_host_device_scalarIT3_EEPKiS7_PKS4_iiS9_lS5_PS4_l21rocsparse_index_base_b.kd
    .uniform_work_group_size: 1
    .uses_dynamic_stack: false
    .vgpr_count:     26
    .vgpr_spill_count: 0
    .wavefront_size: 64
  - .agpr_count:     0
    .args:
      - .offset:         0
        .size:           4
        .value_kind:     by_value
      - .offset:         4
        .size:           4
        .value_kind:     by_value
      - .offset:         8
        .size:           4
        .value_kind:     by_value
      - .offset:         12
        .size:           4
        .value_kind:     by_value
      - .offset:         16
        .size:           8
        .value_kind:     by_value
      - .actual_access:  read_only
        .address_space:  global
        .offset:         24
        .size:           8
        .value_kind:     global_buffer
      - .actual_access:  read_only
        .address_space:  global
        .offset:         32
        .size:           8
        .value_kind:     global_buffer
      - .actual_access:  read_only
        .address_space:  global
        .offset:         40
        .size:           8
        .value_kind:     global_buffer
      - .offset:         48
        .size:           4
        .value_kind:     by_value
      - .offset:         52
        .size:           4
        .value_kind:     by_value
      - .actual_access:  read_only
        .address_space:  global
        .offset:         56
        .size:           8
        .value_kind:     global_buffer
      - .offset:         64
        .size:           8
        .value_kind:     by_value
      - .offset:         72
        .size:           8
        .value_kind:     by_value
      - .address_space:  global
        .offset:         80
        .size:           8
        .value_kind:     global_buffer
      - .offset:         88
        .size:           8
        .value_kind:     by_value
      - .offset:         96
        .size:           4
        .value_kind:     by_value
      - .offset:         100
        .size:           1
        .value_kind:     by_value
    .group_segment_fixed_size: 456
    .kernarg_segment_align: 8
    .kernarg_segment_size: 104
    .language:       OpenCL C
    .language_version:
      - 2
      - 0
    .max_flat_workgroup_size: 48
    .name:           _ZN9rocsparseL29gebsrmm_small_blockdim_kernelILi3ELi2ELi3ELi16EdEEv20rocsparse_direction_20rocsparse_operation_iiNS_24const_host_device_scalarIT3_EEPKiS7_PKS4_iiS9_lS5_PS4_l21rocsparse_index_base_b
    .private_segment_fixed_size: 0
    .sgpr_count:     42
    .sgpr_spill_count: 0
    .symbol:         _ZN9rocsparseL29gebsrmm_small_blockdim_kernelILi3ELi2ELi3ELi16EdEEv20rocsparse_direction_20rocsparse_operation_iiNS_24const_host_device_scalarIT3_EEPKiS7_PKS4_iiS9_lS5_PS4_l21rocsparse_index_base_b.kd
    .uniform_work_group_size: 1
    .uses_dynamic_stack: false
    .vgpr_count:     32
    .vgpr_spill_count: 0
    .wavefront_size: 64
  - .agpr_count:     0
    .args:
      - .offset:         0
        .size:           4
        .value_kind:     by_value
      - .offset:         4
        .size:           4
        .value_kind:     by_value
      - .offset:         8
        .size:           4
        .value_kind:     by_value
      - .offset:         12
        .size:           4
        .value_kind:     by_value
      - .offset:         16
        .size:           8
        .value_kind:     by_value
      - .actual_access:  read_only
        .address_space:  global
        .offset:         24
        .size:           8
        .value_kind:     global_buffer
      - .actual_access:  read_only
        .address_space:  global
        .offset:         32
        .size:           8
        .value_kind:     global_buffer
      - .actual_access:  read_only
        .address_space:  global
        .offset:         40
        .size:           8
        .value_kind:     global_buffer
      - .offset:         48
        .size:           4
        .value_kind:     by_value
      - .offset:         52
        .size:           4
        .value_kind:     by_value
      - .actual_access:  read_only
        .address_space:  global
        .offset:         56
        .size:           8
        .value_kind:     global_buffer
      - .offset:         64
        .size:           8
        .value_kind:     by_value
      - .offset:         72
        .size:           8
        .value_kind:     by_value
      - .address_space:  global
        .offset:         80
        .size:           8
        .value_kind:     global_buffer
      - .offset:         88
        .size:           8
        .value_kind:     by_value
      - .offset:         96
        .size:           4
        .value_kind:     by_value
      - .offset:         100
        .size:           1
        .value_kind:     by_value
    .group_segment_fixed_size: 640
    .kernarg_segment_align: 8
    .kernarg_segment_size: 104
    .language:       OpenCL C
    .language_version:
      - 2
      - 0
    .max_flat_workgroup_size: 64
    .name:           _ZN9rocsparseL29gebsrmm_small_blockdim_kernelILi3ELi4ELi4ELi16EdEEv20rocsparse_direction_20rocsparse_operation_iiNS_24const_host_device_scalarIT3_EEPKiS7_PKS4_iiS9_lS5_PS4_l21rocsparse_index_base_b
    .private_segment_fixed_size: 0
    .sgpr_count:     42
    .sgpr_spill_count: 0
    .symbol:         _ZN9rocsparseL29gebsrmm_small_blockdim_kernelILi3ELi4ELi4ELi16EdEEv20rocsparse_direction_20rocsparse_operation_iiNS_24const_host_device_scalarIT3_EEPKiS7_PKS4_iiS9_lS5_PS4_l21rocsparse_index_base_b.kd
    .uniform_work_group_size: 1
    .uses_dynamic_stack: false
    .vgpr_count:     40
    .vgpr_spill_count: 0
    .wavefront_size: 64
  - .agpr_count:     0
    .args:
      - .offset:         0
        .size:           4
        .value_kind:     by_value
      - .offset:         4
        .size:           4
        .value_kind:     by_value
      - .offset:         8
        .size:           4
        .value_kind:     by_value
      - .offset:         12
        .size:           4
        .value_kind:     by_value
      - .offset:         16
        .size:           8
        .value_kind:     by_value
      - .actual_access:  read_only
        .address_space:  global
        .offset:         24
        .size:           8
        .value_kind:     global_buffer
      - .actual_access:  read_only
        .address_space:  global
        .offset:         32
        .size:           8
        .value_kind:     global_buffer
      - .actual_access:  read_only
        .address_space:  global
        .offset:         40
        .size:           8
        .value_kind:     global_buffer
      - .offset:         48
        .size:           4
        .value_kind:     by_value
      - .offset:         52
        .size:           4
        .value_kind:     by_value
      - .actual_access:  read_only
        .address_space:  global
        .offset:         56
        .size:           8
        .value_kind:     global_buffer
      - .offset:         64
        .size:           8
        .value_kind:     by_value
      - .offset:         72
        .size:           8
        .value_kind:     by_value
      - .address_space:  global
        .offset:         80
        .size:           8
        .value_kind:     global_buffer
      - .offset:         88
        .size:           8
        .value_kind:     by_value
      - .offset:         96
        .size:           4
        .value_kind:     by_value
      - .offset:         100
        .size:           1
        .value_kind:     by_value
    .group_segment_fixed_size: 640
    .kernarg_segment_align: 8
    .kernarg_segment_size: 104
    .language:       OpenCL C
    .language_version:
      - 2
      - 0
    .max_flat_workgroup_size: 64
    .name:           _ZN9rocsparseL29gebsrmm_small_blockdim_kernelILi4ELi1ELi4ELi16EdEEv20rocsparse_direction_20rocsparse_operation_iiNS_24const_host_device_scalarIT3_EEPKiS7_PKS4_iiS9_lS5_PS4_l21rocsparse_index_base_b
    .private_segment_fixed_size: 0
    .sgpr_count:     40
    .sgpr_spill_count: 0
    .symbol:         _ZN9rocsparseL29gebsrmm_small_blockdim_kernelILi4ELi1ELi4ELi16EdEEv20rocsparse_direction_20rocsparse_operation_iiNS_24const_host_device_scalarIT3_EEPKiS7_PKS4_iiS9_lS5_PS4_l21rocsparse_index_base_b.kd
    .uniform_work_group_size: 1
    .uses_dynamic_stack: false
    .vgpr_count:     26
    .vgpr_spill_count: 0
    .wavefront_size: 64
  - .agpr_count:     0
    .args:
      - .offset:         0
        .size:           4
        .value_kind:     by_value
      - .offset:         4
        .size:           4
        .value_kind:     by_value
      - .offset:         8
        .size:           4
        .value_kind:     by_value
      - .offset:         12
        .size:           4
        .value_kind:     by_value
      - .offset:         16
        .size:           8
        .value_kind:     by_value
      - .actual_access:  read_only
        .address_space:  global
        .offset:         24
        .size:           8
        .value_kind:     global_buffer
      - .actual_access:  read_only
        .address_space:  global
        .offset:         32
        .size:           8
        .value_kind:     global_buffer
      - .actual_access:  read_only
        .address_space:  global
        .offset:         40
        .size:           8
        .value_kind:     global_buffer
      - .offset:         48
        .size:           4
        .value_kind:     by_value
      - .offset:         52
        .size:           4
        .value_kind:     by_value
      - .actual_access:  read_only
        .address_space:  global
        .offset:         56
        .size:           8
        .value_kind:     global_buffer
      - .offset:         64
        .size:           8
        .value_kind:     by_value
      - .offset:         72
        .size:           8
        .value_kind:     by_value
      - .address_space:  global
        .offset:         80
        .size:           8
        .value_kind:     global_buffer
      - .offset:         88
        .size:           8
        .value_kind:     by_value
      - .offset:         96
        .size:           4
        .value_kind:     by_value
      - .offset:         100
        .size:           1
        .value_kind:     by_value
    .group_segment_fixed_size: 640
    .kernarg_segment_align: 8
    .kernarg_segment_size: 104
    .language:       OpenCL C
    .language_version:
      - 2
      - 0
    .max_flat_workgroup_size: 64
    .name:           _ZN9rocsparseL29gebsrmm_small_blockdim_kernelILi4ELi2ELi4ELi16EdEEv20rocsparse_direction_20rocsparse_operation_iiNS_24const_host_device_scalarIT3_EEPKiS7_PKS4_iiS9_lS5_PS4_l21rocsparse_index_base_b
    .private_segment_fixed_size: 0
    .sgpr_count:     40
    .sgpr_spill_count: 0
    .symbol:         _ZN9rocsparseL29gebsrmm_small_blockdim_kernelILi4ELi2ELi4ELi16EdEEv20rocsparse_direction_20rocsparse_operation_iiNS_24const_host_device_scalarIT3_EEPKiS7_PKS4_iiS9_lS5_PS4_l21rocsparse_index_base_b.kd
    .uniform_work_group_size: 1
    .uses_dynamic_stack: false
    .vgpr_count:     32
    .vgpr_spill_count: 0
    .wavefront_size: 64
  - .agpr_count:     0
    .args:
      - .offset:         0
        .size:           4
        .value_kind:     by_value
      - .offset:         4
        .size:           4
        .value_kind:     by_value
      - .offset:         8
        .size:           4
        .value_kind:     by_value
      - .offset:         12
        .size:           4
        .value_kind:     by_value
      - .offset:         16
        .size:           8
        .value_kind:     by_value
      - .actual_access:  read_only
        .address_space:  global
        .offset:         24
        .size:           8
        .value_kind:     global_buffer
      - .actual_access:  read_only
        .address_space:  global
        .offset:         32
        .size:           8
        .value_kind:     global_buffer
      - .actual_access:  read_only
        .address_space:  global
        .offset:         40
        .size:           8
        .value_kind:     global_buffer
      - .offset:         48
        .size:           4
        .value_kind:     by_value
      - .offset:         52
        .size:           4
        .value_kind:     by_value
      - .actual_access:  read_only
        .address_space:  global
        .offset:         56
        .size:           8
        .value_kind:     global_buffer
      - .offset:         64
        .size:           8
        .value_kind:     by_value
      - .offset:         72
        .size:           8
        .value_kind:     by_value
      - .address_space:  global
        .offset:         80
        .size:           8
        .value_kind:     global_buffer
      - .offset:         88
        .size:           8
        .value_kind:     by_value
      - .offset:         96
        .size:           4
        .value_kind:     by_value
      - .offset:         100
        .size:           1
        .value_kind:     by_value
    .group_segment_fixed_size: 640
    .kernarg_segment_align: 8
    .kernarg_segment_size: 104
    .language:       OpenCL C
    .language_version:
      - 2
      - 0
    .max_flat_workgroup_size: 64
    .name:           _ZN9rocsparseL29gebsrmm_small_blockdim_kernelILi4ELi3ELi4ELi16EdEEv20rocsparse_direction_20rocsparse_operation_iiNS_24const_host_device_scalarIT3_EEPKiS7_PKS4_iiS9_lS5_PS4_l21rocsparse_index_base_b
    .private_segment_fixed_size: 0
    .sgpr_count:     42
    .sgpr_spill_count: 0
    .symbol:         _ZN9rocsparseL29gebsrmm_small_blockdim_kernelILi4ELi3ELi4ELi16EdEEv20rocsparse_direction_20rocsparse_operation_iiNS_24const_host_device_scalarIT3_EEPKiS7_PKS4_iiS9_lS5_PS4_l21rocsparse_index_base_b.kd
    .uniform_work_group_size: 1
    .uses_dynamic_stack: false
    .vgpr_count:     34
    .vgpr_spill_count: 0
    .wavefront_size: 64
  - .agpr_count:     0
    .args:
      - .offset:         0
        .size:           4
        .value_kind:     by_value
      - .offset:         4
        .size:           4
        .value_kind:     by_value
      - .offset:         8
        .size:           4
        .value_kind:     by_value
      - .offset:         12
        .size:           4
        .value_kind:     by_value
      - .offset:         16
        .size:           8
        .value_kind:     by_value
      - .actual_access:  read_only
        .address_space:  global
        .offset:         24
        .size:           8
        .value_kind:     global_buffer
      - .actual_access:  read_only
        .address_space:  global
        .offset:         32
        .size:           8
        .value_kind:     global_buffer
      - .actual_access:  read_only
        .address_space:  global
        .offset:         40
        .size:           8
        .value_kind:     global_buffer
      - .offset:         48
        .size:           4
        .value_kind:     by_value
      - .offset:         52
        .size:           4
        .value_kind:     by_value
      - .actual_access:  read_only
        .address_space:  global
        .offset:         56
        .size:           8
        .value_kind:     global_buffer
      - .offset:         64
        .size:           8
        .value_kind:     by_value
      - .offset:         72
        .size:           8
        .value_kind:     by_value
      - .address_space:  global
        .offset:         80
        .size:           8
        .value_kind:     global_buffer
      - .offset:         88
        .size:           8
        .value_kind:     by_value
      - .offset:         96
        .size:           4
        .value_kind:     by_value
      - .offset:         100
        .size:           1
        .value_kind:     by_value
    .group_segment_fixed_size: 288
    .kernarg_segment_align: 8
    .kernarg_segment_size: 104
    .language:       OpenCL C
    .language_version:
      - 2
      - 0
    .max_flat_workgroup_size: 32
    .name:           _ZN9rocsparseL29gebsrmm_small_blockdim_kernelILi1ELi2ELi2ELi16E21rocsparse_complex_numIfEEEv20rocsparse_direction_20rocsparse_operation_iiNS_24const_host_device_scalarIT3_EEPKiS9_PKS6_iiSB_lS7_PS6_l21rocsparse_index_base_b
    .private_segment_fixed_size: 0
    .sgpr_count:     40
    .sgpr_spill_count: 0
    .symbol:         _ZN9rocsparseL29gebsrmm_small_blockdim_kernelILi1ELi2ELi2ELi16E21rocsparse_complex_numIfEEEv20rocsparse_direction_20rocsparse_operation_iiNS_24const_host_device_scalarIT3_EEPKiS9_PKS6_iiSB_lS7_PS6_l21rocsparse_index_base_b.kd
    .uniform_work_group_size: 1
    .uses_dynamic_stack: false
    .vgpr_count:     32
    .vgpr_spill_count: 0
    .wavefront_size: 64
  - .agpr_count:     0
    .args:
      - .offset:         0
        .size:           4
        .value_kind:     by_value
      - .offset:         4
        .size:           4
        .value_kind:     by_value
      - .offset:         8
        .size:           4
        .value_kind:     by_value
      - .offset:         12
        .size:           4
        .value_kind:     by_value
      - .offset:         16
        .size:           8
        .value_kind:     by_value
      - .actual_access:  read_only
        .address_space:  global
        .offset:         24
        .size:           8
        .value_kind:     global_buffer
      - .actual_access:  read_only
        .address_space:  global
        .offset:         32
        .size:           8
        .value_kind:     global_buffer
      - .actual_access:  read_only
        .address_space:  global
        .offset:         40
        .size:           8
        .value_kind:     global_buffer
      - .offset:         48
        .size:           4
        .value_kind:     by_value
      - .offset:         52
        .size:           4
        .value_kind:     by_value
      - .actual_access:  read_only
        .address_space:  global
        .offset:         56
        .size:           8
        .value_kind:     global_buffer
      - .offset:         64
        .size:           8
        .value_kind:     by_value
      - .offset:         72
        .size:           8
        .value_kind:     by_value
      - .address_space:  global
        .offset:         80
        .size:           8
        .value_kind:     global_buffer
      - .offset:         88
        .size:           8
        .value_kind:     by_value
      - .offset:         96
        .size:           4
        .value_kind:     by_value
      - .offset:         100
        .size:           1
        .value_kind:     by_value
    .group_segment_fixed_size: 456
    .kernarg_segment_align: 8
    .kernarg_segment_size: 104
    .language:       OpenCL C
    .language_version:
      - 2
      - 0
    .max_flat_workgroup_size: 48
    .name:           _ZN9rocsparseL29gebsrmm_small_blockdim_kernelILi1ELi3ELi3ELi16E21rocsparse_complex_numIfEEEv20rocsparse_direction_20rocsparse_operation_iiNS_24const_host_device_scalarIT3_EEPKiS9_PKS6_iiSB_lS7_PS6_l21rocsparse_index_base_b
    .private_segment_fixed_size: 0
    .sgpr_count:     40
    .sgpr_spill_count: 0
    .symbol:         _ZN9rocsparseL29gebsrmm_small_blockdim_kernelILi1ELi3ELi3ELi16E21rocsparse_complex_numIfEEEv20rocsparse_direction_20rocsparse_operation_iiNS_24const_host_device_scalarIT3_EEPKiS9_PKS6_iiSB_lS7_PS6_l21rocsparse_index_base_b.kd
    .uniform_work_group_size: 1
    .uses_dynamic_stack: false
    .vgpr_count:     34
    .vgpr_spill_count: 0
    .wavefront_size: 64
  - .agpr_count:     0
    .args:
      - .offset:         0
        .size:           4
        .value_kind:     by_value
      - .offset:         4
        .size:           4
        .value_kind:     by_value
      - .offset:         8
        .size:           4
        .value_kind:     by_value
      - .offset:         12
        .size:           4
        .value_kind:     by_value
      - .offset:         16
        .size:           8
        .value_kind:     by_value
      - .actual_access:  read_only
        .address_space:  global
        .offset:         24
        .size:           8
        .value_kind:     global_buffer
      - .actual_access:  read_only
        .address_space:  global
        .offset:         32
        .size:           8
        .value_kind:     global_buffer
      - .actual_access:  read_only
        .address_space:  global
        .offset:         40
        .size:           8
        .value_kind:     global_buffer
      - .offset:         48
        .size:           4
        .value_kind:     by_value
      - .offset:         52
        .size:           4
        .value_kind:     by_value
      - .actual_access:  read_only
        .address_space:  global
        .offset:         56
        .size:           8
        .value_kind:     global_buffer
      - .offset:         64
        .size:           8
        .value_kind:     by_value
      - .offset:         72
        .size:           8
        .value_kind:     by_value
      - .address_space:  global
        .offset:         80
        .size:           8
        .value_kind:     global_buffer
      - .offset:         88
        .size:           8
        .value_kind:     by_value
      - .offset:         96
        .size:           4
        .value_kind:     by_value
      - .offset:         100
        .size:           1
        .value_kind:     by_value
    .group_segment_fixed_size: 640
    .kernarg_segment_align: 8
    .kernarg_segment_size: 104
    .language:       OpenCL C
    .language_version:
      - 2
      - 0
    .max_flat_workgroup_size: 64
    .name:           _ZN9rocsparseL29gebsrmm_small_blockdim_kernelILi1ELi4ELi4ELi16E21rocsparse_complex_numIfEEEv20rocsparse_direction_20rocsparse_operation_iiNS_24const_host_device_scalarIT3_EEPKiS9_PKS6_iiSB_lS7_PS6_l21rocsparse_index_base_b
    .private_segment_fixed_size: 0
    .sgpr_count:     40
    .sgpr_spill_count: 0
    .symbol:         _ZN9rocsparseL29gebsrmm_small_blockdim_kernelILi1ELi4ELi4ELi16E21rocsparse_complex_numIfEEEv20rocsparse_direction_20rocsparse_operation_iiNS_24const_host_device_scalarIT3_EEPKiS9_PKS6_iiSB_lS7_PS6_l21rocsparse_index_base_b.kd
    .uniform_work_group_size: 1
    .uses_dynamic_stack: false
    .vgpr_count:     38
    .vgpr_spill_count: 0
    .wavefront_size: 64
  - .agpr_count:     0
    .args:
      - .offset:         0
        .size:           4
        .value_kind:     by_value
      - .offset:         4
        .size:           4
        .value_kind:     by_value
      - .offset:         8
        .size:           4
        .value_kind:     by_value
      - .offset:         12
        .size:           4
        .value_kind:     by_value
      - .offset:         16
        .size:           8
        .value_kind:     by_value
      - .actual_access:  read_only
        .address_space:  global
        .offset:         24
        .size:           8
        .value_kind:     global_buffer
      - .actual_access:  read_only
        .address_space:  global
        .offset:         32
        .size:           8
        .value_kind:     global_buffer
      - .actual_access:  read_only
        .address_space:  global
        .offset:         40
        .size:           8
        .value_kind:     global_buffer
      - .offset:         48
        .size:           4
        .value_kind:     by_value
      - .offset:         52
        .size:           4
        .value_kind:     by_value
      - .actual_access:  read_only
        .address_space:  global
        .offset:         56
        .size:           8
        .value_kind:     global_buffer
      - .offset:         64
        .size:           8
        .value_kind:     by_value
      - .offset:         72
        .size:           8
        .value_kind:     by_value
      - .address_space:  global
        .offset:         80
        .size:           8
        .value_kind:     global_buffer
      - .offset:         88
        .size:           8
        .value_kind:     by_value
      - .offset:         96
        .size:           4
        .value_kind:     by_value
      - .offset:         100
        .size:           1
        .value_kind:     by_value
    .group_segment_fixed_size: 288
    .kernarg_segment_align: 8
    .kernarg_segment_size: 104
    .language:       OpenCL C
    .language_version:
      - 2
      - 0
    .max_flat_workgroup_size: 32
    .name:           _ZN9rocsparseL29gebsrmm_small_blockdim_kernelILi2ELi1ELi2ELi16E21rocsparse_complex_numIfEEEv20rocsparse_direction_20rocsparse_operation_iiNS_24const_host_device_scalarIT3_EEPKiS9_PKS6_iiSB_lS7_PS6_l21rocsparse_index_base_b
    .private_segment_fixed_size: 0
    .sgpr_count:     40
    .sgpr_spill_count: 0
    .symbol:         _ZN9rocsparseL29gebsrmm_small_blockdim_kernelILi2ELi1ELi2ELi16E21rocsparse_complex_numIfEEEv20rocsparse_direction_20rocsparse_operation_iiNS_24const_host_device_scalarIT3_EEPKiS9_PKS6_iiSB_lS7_PS6_l21rocsparse_index_base_b.kd
    .uniform_work_group_size: 1
    .uses_dynamic_stack: false
    .vgpr_count:     26
    .vgpr_spill_count: 0
    .wavefront_size: 64
  - .agpr_count:     0
    .args:
      - .offset:         0
        .size:           4
        .value_kind:     by_value
      - .offset:         4
        .size:           4
        .value_kind:     by_value
      - .offset:         8
        .size:           4
        .value_kind:     by_value
      - .offset:         12
        .size:           4
        .value_kind:     by_value
      - .offset:         16
        .size:           8
        .value_kind:     by_value
      - .actual_access:  read_only
        .address_space:  global
        .offset:         24
        .size:           8
        .value_kind:     global_buffer
      - .actual_access:  read_only
        .address_space:  global
        .offset:         32
        .size:           8
        .value_kind:     global_buffer
      - .actual_access:  read_only
        .address_space:  global
        .offset:         40
        .size:           8
        .value_kind:     global_buffer
      - .offset:         48
        .size:           4
        .value_kind:     by_value
      - .offset:         52
        .size:           4
        .value_kind:     by_value
      - .actual_access:  read_only
        .address_space:  global
        .offset:         56
        .size:           8
        .value_kind:     global_buffer
      - .offset:         64
        .size:           8
        .value_kind:     by_value
      - .offset:         72
        .size:           8
        .value_kind:     by_value
      - .address_space:  global
        .offset:         80
        .size:           8
        .value_kind:     global_buffer
      - .offset:         88
        .size:           8
        .value_kind:     by_value
      - .offset:         96
        .size:           4
        .value_kind:     by_value
      - .offset:         100
        .size:           1
        .value_kind:     by_value
    .group_segment_fixed_size: 456
    .kernarg_segment_align: 8
    .kernarg_segment_size: 104
    .language:       OpenCL C
    .language_version:
      - 2
      - 0
    .max_flat_workgroup_size: 48
    .name:           _ZN9rocsparseL29gebsrmm_small_blockdim_kernelILi2ELi3ELi3ELi16E21rocsparse_complex_numIfEEEv20rocsparse_direction_20rocsparse_operation_iiNS_24const_host_device_scalarIT3_EEPKiS9_PKS6_iiSB_lS7_PS6_l21rocsparse_index_base_b
    .private_segment_fixed_size: 0
    .sgpr_count:     42
    .sgpr_spill_count: 0
    .symbol:         _ZN9rocsparseL29gebsrmm_small_blockdim_kernelILi2ELi3ELi3ELi16E21rocsparse_complex_numIfEEEv20rocsparse_direction_20rocsparse_operation_iiNS_24const_host_device_scalarIT3_EEPKiS9_PKS6_iiSB_lS7_PS6_l21rocsparse_index_base_b.kd
    .uniform_work_group_size: 1
    .uses_dynamic_stack: false
    .vgpr_count:     34
    .vgpr_spill_count: 0
    .wavefront_size: 64
  - .agpr_count:     0
    .args:
      - .offset:         0
        .size:           4
        .value_kind:     by_value
      - .offset:         4
        .size:           4
        .value_kind:     by_value
      - .offset:         8
        .size:           4
        .value_kind:     by_value
      - .offset:         12
        .size:           4
        .value_kind:     by_value
      - .offset:         16
        .size:           8
        .value_kind:     by_value
      - .actual_access:  read_only
        .address_space:  global
        .offset:         24
        .size:           8
        .value_kind:     global_buffer
      - .actual_access:  read_only
        .address_space:  global
        .offset:         32
        .size:           8
        .value_kind:     global_buffer
      - .actual_access:  read_only
        .address_space:  global
        .offset:         40
        .size:           8
        .value_kind:     global_buffer
      - .offset:         48
        .size:           4
        .value_kind:     by_value
      - .offset:         52
        .size:           4
        .value_kind:     by_value
      - .actual_access:  read_only
        .address_space:  global
        .offset:         56
        .size:           8
        .value_kind:     global_buffer
      - .offset:         64
        .size:           8
        .value_kind:     by_value
      - .offset:         72
        .size:           8
        .value_kind:     by_value
      - .address_space:  global
        .offset:         80
        .size:           8
        .value_kind:     global_buffer
      - .offset:         88
        .size:           8
        .value_kind:     by_value
      - .offset:         96
        .size:           4
        .value_kind:     by_value
      - .offset:         100
        .size:           1
        .value_kind:     by_value
    .group_segment_fixed_size: 640
    .kernarg_segment_align: 8
    .kernarg_segment_size: 104
    .language:       OpenCL C
    .language_version:
      - 2
      - 0
    .max_flat_workgroup_size: 64
    .name:           _ZN9rocsparseL29gebsrmm_small_blockdim_kernelILi2ELi4ELi4ELi16E21rocsparse_complex_numIfEEEv20rocsparse_direction_20rocsparse_operation_iiNS_24const_host_device_scalarIT3_EEPKiS9_PKS6_iiSB_lS7_PS6_l21rocsparse_index_base_b
    .private_segment_fixed_size: 0
    .sgpr_count:     40
    .sgpr_spill_count: 0
    .symbol:         _ZN9rocsparseL29gebsrmm_small_blockdim_kernelILi2ELi4ELi4ELi16E21rocsparse_complex_numIfEEEv20rocsparse_direction_20rocsparse_operation_iiNS_24const_host_device_scalarIT3_EEPKiS9_PKS6_iiSB_lS7_PS6_l21rocsparse_index_base_b.kd
    .uniform_work_group_size: 1
    .uses_dynamic_stack: false
    .vgpr_count:     38
    .vgpr_spill_count: 0
    .wavefront_size: 64
  - .agpr_count:     0
    .args:
      - .offset:         0
        .size:           4
        .value_kind:     by_value
      - .offset:         4
        .size:           4
        .value_kind:     by_value
      - .offset:         8
        .size:           4
        .value_kind:     by_value
      - .offset:         12
        .size:           4
        .value_kind:     by_value
      - .offset:         16
        .size:           8
        .value_kind:     by_value
      - .actual_access:  read_only
        .address_space:  global
        .offset:         24
        .size:           8
        .value_kind:     global_buffer
      - .actual_access:  read_only
        .address_space:  global
        .offset:         32
        .size:           8
        .value_kind:     global_buffer
      - .actual_access:  read_only
        .address_space:  global
        .offset:         40
        .size:           8
        .value_kind:     global_buffer
      - .offset:         48
        .size:           4
        .value_kind:     by_value
      - .offset:         52
        .size:           4
        .value_kind:     by_value
      - .actual_access:  read_only
        .address_space:  global
        .offset:         56
        .size:           8
        .value_kind:     global_buffer
      - .offset:         64
        .size:           8
        .value_kind:     by_value
      - .offset:         72
        .size:           8
        .value_kind:     by_value
      - .address_space:  global
        .offset:         80
        .size:           8
        .value_kind:     global_buffer
      - .offset:         88
        .size:           8
        .value_kind:     by_value
      - .offset:         96
        .size:           4
        .value_kind:     by_value
      - .offset:         100
        .size:           1
        .value_kind:     by_value
    .group_segment_fixed_size: 456
    .kernarg_segment_align: 8
    .kernarg_segment_size: 104
    .language:       OpenCL C
    .language_version:
      - 2
      - 0
    .max_flat_workgroup_size: 48
    .name:           _ZN9rocsparseL29gebsrmm_small_blockdim_kernelILi3ELi1ELi3ELi16E21rocsparse_complex_numIfEEEv20rocsparse_direction_20rocsparse_operation_iiNS_24const_host_device_scalarIT3_EEPKiS9_PKS6_iiSB_lS7_PS6_l21rocsparse_index_base_b
    .private_segment_fixed_size: 0
    .sgpr_count:     40
    .sgpr_spill_count: 0
    .symbol:         _ZN9rocsparseL29gebsrmm_small_blockdim_kernelILi3ELi1ELi3ELi16E21rocsparse_complex_numIfEEEv20rocsparse_direction_20rocsparse_operation_iiNS_24const_host_device_scalarIT3_EEPKiS9_PKS6_iiSB_lS7_PS6_l21rocsparse_index_base_b.kd
    .uniform_work_group_size: 1
    .uses_dynamic_stack: false
    .vgpr_count:     26
    .vgpr_spill_count: 0
    .wavefront_size: 64
  - .agpr_count:     0
    .args:
      - .offset:         0
        .size:           4
        .value_kind:     by_value
      - .offset:         4
        .size:           4
        .value_kind:     by_value
      - .offset:         8
        .size:           4
        .value_kind:     by_value
      - .offset:         12
        .size:           4
        .value_kind:     by_value
      - .offset:         16
        .size:           8
        .value_kind:     by_value
      - .actual_access:  read_only
        .address_space:  global
        .offset:         24
        .size:           8
        .value_kind:     global_buffer
      - .actual_access:  read_only
        .address_space:  global
        .offset:         32
        .size:           8
        .value_kind:     global_buffer
      - .actual_access:  read_only
        .address_space:  global
        .offset:         40
        .size:           8
        .value_kind:     global_buffer
      - .offset:         48
        .size:           4
        .value_kind:     by_value
      - .offset:         52
        .size:           4
        .value_kind:     by_value
      - .actual_access:  read_only
        .address_space:  global
        .offset:         56
        .size:           8
        .value_kind:     global_buffer
      - .offset:         64
        .size:           8
        .value_kind:     by_value
      - .offset:         72
        .size:           8
        .value_kind:     by_value
      - .address_space:  global
        .offset:         80
        .size:           8
        .value_kind:     global_buffer
      - .offset:         88
        .size:           8
        .value_kind:     by_value
      - .offset:         96
        .size:           4
        .value_kind:     by_value
      - .offset:         100
        .size:           1
        .value_kind:     by_value
    .group_segment_fixed_size: 456
    .kernarg_segment_align: 8
    .kernarg_segment_size: 104
    .language:       OpenCL C
    .language_version:
      - 2
      - 0
    .max_flat_workgroup_size: 48
    .name:           _ZN9rocsparseL29gebsrmm_small_blockdim_kernelILi3ELi2ELi3ELi16E21rocsparse_complex_numIfEEEv20rocsparse_direction_20rocsparse_operation_iiNS_24const_host_device_scalarIT3_EEPKiS9_PKS6_iiSB_lS7_PS6_l21rocsparse_index_base_b
    .private_segment_fixed_size: 0
    .sgpr_count:     42
    .sgpr_spill_count: 0
    .symbol:         _ZN9rocsparseL29gebsrmm_small_blockdim_kernelILi3ELi2ELi3ELi16E21rocsparse_complex_numIfEEEv20rocsparse_direction_20rocsparse_operation_iiNS_24const_host_device_scalarIT3_EEPKiS9_PKS6_iiSB_lS7_PS6_l21rocsparse_index_base_b.kd
    .uniform_work_group_size: 1
    .uses_dynamic_stack: false
    .vgpr_count:     32
    .vgpr_spill_count: 0
    .wavefront_size: 64
  - .agpr_count:     0
    .args:
      - .offset:         0
        .size:           4
        .value_kind:     by_value
      - .offset:         4
        .size:           4
        .value_kind:     by_value
      - .offset:         8
        .size:           4
        .value_kind:     by_value
      - .offset:         12
        .size:           4
        .value_kind:     by_value
      - .offset:         16
        .size:           8
        .value_kind:     by_value
      - .actual_access:  read_only
        .address_space:  global
        .offset:         24
        .size:           8
        .value_kind:     global_buffer
      - .actual_access:  read_only
        .address_space:  global
        .offset:         32
        .size:           8
        .value_kind:     global_buffer
      - .actual_access:  read_only
        .address_space:  global
        .offset:         40
        .size:           8
        .value_kind:     global_buffer
      - .offset:         48
        .size:           4
        .value_kind:     by_value
      - .offset:         52
        .size:           4
        .value_kind:     by_value
      - .actual_access:  read_only
        .address_space:  global
        .offset:         56
        .size:           8
        .value_kind:     global_buffer
      - .offset:         64
        .size:           8
        .value_kind:     by_value
      - .offset:         72
        .size:           8
        .value_kind:     by_value
      - .address_space:  global
        .offset:         80
        .size:           8
        .value_kind:     global_buffer
      - .offset:         88
        .size:           8
        .value_kind:     by_value
      - .offset:         96
        .size:           4
        .value_kind:     by_value
      - .offset:         100
        .size:           1
        .value_kind:     by_value
    .group_segment_fixed_size: 640
    .kernarg_segment_align: 8
    .kernarg_segment_size: 104
    .language:       OpenCL C
    .language_version:
      - 2
      - 0
    .max_flat_workgroup_size: 64
    .name:           _ZN9rocsparseL29gebsrmm_small_blockdim_kernelILi3ELi4ELi4ELi16E21rocsparse_complex_numIfEEEv20rocsparse_direction_20rocsparse_operation_iiNS_24const_host_device_scalarIT3_EEPKiS9_PKS6_iiSB_lS7_PS6_l21rocsparse_index_base_b
    .private_segment_fixed_size: 0
    .sgpr_count:     42
    .sgpr_spill_count: 0
    .symbol:         _ZN9rocsparseL29gebsrmm_small_blockdim_kernelILi3ELi4ELi4ELi16E21rocsparse_complex_numIfEEEv20rocsparse_direction_20rocsparse_operation_iiNS_24const_host_device_scalarIT3_EEPKiS9_PKS6_iiSB_lS7_PS6_l21rocsparse_index_base_b.kd
    .uniform_work_group_size: 1
    .uses_dynamic_stack: false
    .vgpr_count:     38
    .vgpr_spill_count: 0
    .wavefront_size: 64
  - .agpr_count:     0
    .args:
      - .offset:         0
        .size:           4
        .value_kind:     by_value
      - .offset:         4
        .size:           4
        .value_kind:     by_value
      - .offset:         8
        .size:           4
        .value_kind:     by_value
      - .offset:         12
        .size:           4
        .value_kind:     by_value
      - .offset:         16
        .size:           8
        .value_kind:     by_value
      - .actual_access:  read_only
        .address_space:  global
        .offset:         24
        .size:           8
        .value_kind:     global_buffer
      - .actual_access:  read_only
        .address_space:  global
        .offset:         32
        .size:           8
        .value_kind:     global_buffer
      - .actual_access:  read_only
        .address_space:  global
        .offset:         40
        .size:           8
        .value_kind:     global_buffer
      - .offset:         48
        .size:           4
        .value_kind:     by_value
      - .offset:         52
        .size:           4
        .value_kind:     by_value
      - .actual_access:  read_only
        .address_space:  global
        .offset:         56
        .size:           8
        .value_kind:     global_buffer
      - .offset:         64
        .size:           8
        .value_kind:     by_value
      - .offset:         72
        .size:           8
        .value_kind:     by_value
      - .address_space:  global
        .offset:         80
        .size:           8
        .value_kind:     global_buffer
      - .offset:         88
        .size:           8
        .value_kind:     by_value
      - .offset:         96
        .size:           4
        .value_kind:     by_value
      - .offset:         100
        .size:           1
        .value_kind:     by_value
    .group_segment_fixed_size: 640
    .kernarg_segment_align: 8
    .kernarg_segment_size: 104
    .language:       OpenCL C
    .language_version:
      - 2
      - 0
    .max_flat_workgroup_size: 64
    .name:           _ZN9rocsparseL29gebsrmm_small_blockdim_kernelILi4ELi1ELi4ELi16E21rocsparse_complex_numIfEEEv20rocsparse_direction_20rocsparse_operation_iiNS_24const_host_device_scalarIT3_EEPKiS9_PKS6_iiSB_lS7_PS6_l21rocsparse_index_base_b
    .private_segment_fixed_size: 0
    .sgpr_count:     40
    .sgpr_spill_count: 0
    .symbol:         _ZN9rocsparseL29gebsrmm_small_blockdim_kernelILi4ELi1ELi4ELi16E21rocsparse_complex_numIfEEEv20rocsparse_direction_20rocsparse_operation_iiNS_24const_host_device_scalarIT3_EEPKiS9_PKS6_iiSB_lS7_PS6_l21rocsparse_index_base_b.kd
    .uniform_work_group_size: 1
    .uses_dynamic_stack: false
    .vgpr_count:     26
    .vgpr_spill_count: 0
    .wavefront_size: 64
  - .agpr_count:     0
    .args:
      - .offset:         0
        .size:           4
        .value_kind:     by_value
      - .offset:         4
        .size:           4
        .value_kind:     by_value
      - .offset:         8
        .size:           4
        .value_kind:     by_value
      - .offset:         12
        .size:           4
        .value_kind:     by_value
      - .offset:         16
        .size:           8
        .value_kind:     by_value
      - .actual_access:  read_only
        .address_space:  global
        .offset:         24
        .size:           8
        .value_kind:     global_buffer
      - .actual_access:  read_only
        .address_space:  global
        .offset:         32
        .size:           8
        .value_kind:     global_buffer
      - .actual_access:  read_only
        .address_space:  global
        .offset:         40
        .size:           8
        .value_kind:     global_buffer
      - .offset:         48
        .size:           4
        .value_kind:     by_value
      - .offset:         52
        .size:           4
        .value_kind:     by_value
      - .actual_access:  read_only
        .address_space:  global
        .offset:         56
        .size:           8
        .value_kind:     global_buffer
      - .offset:         64
        .size:           8
        .value_kind:     by_value
      - .offset:         72
        .size:           8
        .value_kind:     by_value
      - .address_space:  global
        .offset:         80
        .size:           8
        .value_kind:     global_buffer
      - .offset:         88
        .size:           8
        .value_kind:     by_value
      - .offset:         96
        .size:           4
        .value_kind:     by_value
      - .offset:         100
        .size:           1
        .value_kind:     by_value
    .group_segment_fixed_size: 640
    .kernarg_segment_align: 8
    .kernarg_segment_size: 104
    .language:       OpenCL C
    .language_version:
      - 2
      - 0
    .max_flat_workgroup_size: 64
    .name:           _ZN9rocsparseL29gebsrmm_small_blockdim_kernelILi4ELi2ELi4ELi16E21rocsparse_complex_numIfEEEv20rocsparse_direction_20rocsparse_operation_iiNS_24const_host_device_scalarIT3_EEPKiS9_PKS6_iiSB_lS7_PS6_l21rocsparse_index_base_b
    .private_segment_fixed_size: 0
    .sgpr_count:     40
    .sgpr_spill_count: 0
    .symbol:         _ZN9rocsparseL29gebsrmm_small_blockdim_kernelILi4ELi2ELi4ELi16E21rocsparse_complex_numIfEEEv20rocsparse_direction_20rocsparse_operation_iiNS_24const_host_device_scalarIT3_EEPKiS9_PKS6_iiSB_lS7_PS6_l21rocsparse_index_base_b.kd
    .uniform_work_group_size: 1
    .uses_dynamic_stack: false
    .vgpr_count:     32
    .vgpr_spill_count: 0
    .wavefront_size: 64
  - .agpr_count:     0
    .args:
      - .offset:         0
        .size:           4
        .value_kind:     by_value
      - .offset:         4
        .size:           4
        .value_kind:     by_value
      - .offset:         8
        .size:           4
        .value_kind:     by_value
      - .offset:         12
        .size:           4
        .value_kind:     by_value
      - .offset:         16
        .size:           8
        .value_kind:     by_value
      - .actual_access:  read_only
        .address_space:  global
        .offset:         24
        .size:           8
        .value_kind:     global_buffer
      - .actual_access:  read_only
        .address_space:  global
        .offset:         32
        .size:           8
        .value_kind:     global_buffer
      - .actual_access:  read_only
        .address_space:  global
        .offset:         40
        .size:           8
        .value_kind:     global_buffer
      - .offset:         48
        .size:           4
        .value_kind:     by_value
      - .offset:         52
        .size:           4
        .value_kind:     by_value
      - .actual_access:  read_only
        .address_space:  global
        .offset:         56
        .size:           8
        .value_kind:     global_buffer
      - .offset:         64
        .size:           8
        .value_kind:     by_value
      - .offset:         72
        .size:           8
        .value_kind:     by_value
      - .address_space:  global
        .offset:         80
        .size:           8
        .value_kind:     global_buffer
      - .offset:         88
        .size:           8
        .value_kind:     by_value
      - .offset:         96
        .size:           4
        .value_kind:     by_value
      - .offset:         100
        .size:           1
        .value_kind:     by_value
    .group_segment_fixed_size: 640
    .kernarg_segment_align: 8
    .kernarg_segment_size: 104
    .language:       OpenCL C
    .language_version:
      - 2
      - 0
    .max_flat_workgroup_size: 64
    .name:           _ZN9rocsparseL29gebsrmm_small_blockdim_kernelILi4ELi3ELi4ELi16E21rocsparse_complex_numIfEEEv20rocsparse_direction_20rocsparse_operation_iiNS_24const_host_device_scalarIT3_EEPKiS9_PKS6_iiSB_lS7_PS6_l21rocsparse_index_base_b
    .private_segment_fixed_size: 0
    .sgpr_count:     42
    .sgpr_spill_count: 0
    .symbol:         _ZN9rocsparseL29gebsrmm_small_blockdim_kernelILi4ELi3ELi4ELi16E21rocsparse_complex_numIfEEEv20rocsparse_direction_20rocsparse_operation_iiNS_24const_host_device_scalarIT3_EEPKiS9_PKS6_iiSB_lS7_PS6_l21rocsparse_index_base_b.kd
    .uniform_work_group_size: 1
    .uses_dynamic_stack: false
    .vgpr_count:     34
    .vgpr_spill_count: 0
    .wavefront_size: 64
  - .agpr_count:     0
    .args:
      - .offset:         0
        .size:           4
        .value_kind:     by_value
      - .offset:         4
        .size:           4
        .value_kind:     by_value
      - .offset:         8
        .size:           4
        .value_kind:     by_value
      - .offset:         12
        .size:           4
        .value_kind:     by_value
      - .offset:         16
        .size:           16
        .value_kind:     by_value
      - .actual_access:  read_only
        .address_space:  global
        .offset:         32
        .size:           8
        .value_kind:     global_buffer
      - .actual_access:  read_only
        .address_space:  global
        .offset:         40
        .size:           8
        .value_kind:     global_buffer
      - .actual_access:  read_only
        .address_space:  global
        .offset:         48
        .size:           8
        .value_kind:     global_buffer
      - .offset:         56
        .size:           4
        .value_kind:     by_value
      - .offset:         60
        .size:           4
        .value_kind:     by_value
      - .actual_access:  read_only
        .address_space:  global
        .offset:         64
        .size:           8
        .value_kind:     global_buffer
      - .offset:         72
        .size:           8
        .value_kind:     by_value
      - .offset:         80
        .size:           16
        .value_kind:     by_value
      - .address_space:  global
        .offset:         96
        .size:           8
        .value_kind:     global_buffer
      - .offset:         104
        .size:           8
        .value_kind:     by_value
      - .offset:         112
        .size:           4
        .value_kind:     by_value
      - .offset:         116
        .size:           1
        .value_kind:     by_value
    .group_segment_fixed_size: 1088
    .kernarg_segment_align: 8
    .kernarg_segment_size: 120
    .language:       OpenCL C
    .language_version:
      - 2
      - 0
    .max_flat_workgroup_size: 32
    .name:           _ZN9rocsparseL29gebsrmm_small_blockdim_kernelILi1ELi2ELi2ELi16E21rocsparse_complex_numIdEEEv20rocsparse_direction_20rocsparse_operation_iiNS_24const_host_device_scalarIT3_EEPKiS9_PKS6_iiSB_lS7_PS6_l21rocsparse_index_base_b
    .private_segment_fixed_size: 0
    .sgpr_count:     40
    .sgpr_spill_count: 0
    .symbol:         _ZN9rocsparseL29gebsrmm_small_blockdim_kernelILi1ELi2ELi2ELi16E21rocsparse_complex_numIdEEEv20rocsparse_direction_20rocsparse_operation_iiNS_24const_host_device_scalarIT3_EEPKiS9_PKS6_iiSB_lS7_PS6_l21rocsparse_index_base_b.kd
    .uniform_work_group_size: 1
    .uses_dynamic_stack: false
    .vgpr_count:     46
    .vgpr_spill_count: 0
    .wavefront_size: 64
  - .agpr_count:     0
    .args:
      - .offset:         0
        .size:           4
        .value_kind:     by_value
      - .offset:         4
        .size:           4
        .value_kind:     by_value
      - .offset:         8
        .size:           4
        .value_kind:     by_value
      - .offset:         12
        .size:           4
        .value_kind:     by_value
      - .offset:         16
        .size:           16
        .value_kind:     by_value
      - .actual_access:  read_only
        .address_space:  global
        .offset:         32
        .size:           8
        .value_kind:     global_buffer
      - .actual_access:  read_only
        .address_space:  global
        .offset:         40
        .size:           8
        .value_kind:     global_buffer
      - .actual_access:  read_only
        .address_space:  global
        .offset:         48
        .size:           8
        .value_kind:     global_buffer
      - .offset:         56
        .size:           4
        .value_kind:     by_value
      - .offset:         60
        .size:           4
        .value_kind:     by_value
      - .actual_access:  read_only
        .address_space:  global
        .offset:         64
        .size:           8
        .value_kind:     global_buffer
      - .offset:         72
        .size:           8
        .value_kind:     by_value
      - .offset:         80
        .size:           16
        .value_kind:     by_value
      - .address_space:  global
        .offset:         96
        .size:           8
        .value_kind:     global_buffer
      - .offset:         104
        .size:           8
        .value_kind:     by_value
      - .offset:         112
        .size:           4
        .value_kind:     by_value
      - .offset:         116
        .size:           1
        .value_kind:     by_value
    .group_segment_fixed_size: 1680
    .kernarg_segment_align: 8
    .kernarg_segment_size: 120
    .language:       OpenCL C
    .language_version:
      - 2
      - 0
    .max_flat_workgroup_size: 48
    .name:           _ZN9rocsparseL29gebsrmm_small_blockdim_kernelILi1ELi3ELi3ELi16E21rocsparse_complex_numIdEEEv20rocsparse_direction_20rocsparse_operation_iiNS_24const_host_device_scalarIT3_EEPKiS9_PKS6_iiSB_lS7_PS6_l21rocsparse_index_base_b
    .private_segment_fixed_size: 0
    .sgpr_count:     40
    .sgpr_spill_count: 0
    .symbol:         _ZN9rocsparseL29gebsrmm_small_blockdim_kernelILi1ELi3ELi3ELi16E21rocsparse_complex_numIdEEEv20rocsparse_direction_20rocsparse_operation_iiNS_24const_host_device_scalarIT3_EEPKiS9_PKS6_iiSB_lS7_PS6_l21rocsparse_index_base_b.kd
    .uniform_work_group_size: 1
    .uses_dynamic_stack: false
    .vgpr_count:     54
    .vgpr_spill_count: 0
    .wavefront_size: 64
  - .agpr_count:     0
    .args:
      - .offset:         0
        .size:           4
        .value_kind:     by_value
      - .offset:         4
        .size:           4
        .value_kind:     by_value
      - .offset:         8
        .size:           4
        .value_kind:     by_value
      - .offset:         12
        .size:           4
        .value_kind:     by_value
      - .offset:         16
        .size:           16
        .value_kind:     by_value
      - .actual_access:  read_only
        .address_space:  global
        .offset:         32
        .size:           8
        .value_kind:     global_buffer
      - .actual_access:  read_only
        .address_space:  global
        .offset:         40
        .size:           8
        .value_kind:     global_buffer
      - .actual_access:  read_only
        .address_space:  global
        .offset:         48
        .size:           8
        .value_kind:     global_buffer
      - .offset:         56
        .size:           4
        .value_kind:     by_value
      - .offset:         60
        .size:           4
        .value_kind:     by_value
      - .actual_access:  read_only
        .address_space:  global
        .offset:         64
        .size:           8
        .value_kind:     global_buffer
      - .offset:         72
        .size:           8
        .value_kind:     by_value
      - .offset:         80
        .size:           16
        .value_kind:     by_value
      - .address_space:  global
        .offset:         96
        .size:           8
        .value_kind:     global_buffer
      - .offset:         104
        .size:           8
        .value_kind:     by_value
      - .offset:         112
        .size:           4
        .value_kind:     by_value
      - .offset:         116
        .size:           1
        .value_kind:     by_value
    .group_segment_fixed_size: 1792
    .kernarg_segment_align: 8
    .kernarg_segment_size: 120
    .language:       OpenCL C
    .language_version:
      - 2
      - 0
    .max_flat_workgroup_size: 64
    .name:           _ZN9rocsparseL29gebsrmm_small_blockdim_kernelILi1ELi4ELi4ELi16E21rocsparse_complex_numIdEEEv20rocsparse_direction_20rocsparse_operation_iiNS_24const_host_device_scalarIT3_EEPKiS9_PKS6_iiSB_lS7_PS6_l21rocsparse_index_base_b
    .private_segment_fixed_size: 16
    .sgpr_count:     46
    .sgpr_spill_count: 0
    .symbol:         _ZN9rocsparseL29gebsrmm_small_blockdim_kernelILi1ELi4ELi4ELi16E21rocsparse_complex_numIdEEEv20rocsparse_direction_20rocsparse_operation_iiNS_24const_host_device_scalarIT3_EEPKiS9_PKS6_iiSB_lS7_PS6_l21rocsparse_index_base_b.kd
    .uniform_work_group_size: 1
    .uses_dynamic_stack: false
    .vgpr_count:     54
    .vgpr_spill_count: 0
    .wavefront_size: 64
  - .agpr_count:     0
    .args:
      - .offset:         0
        .size:           4
        .value_kind:     by_value
      - .offset:         4
        .size:           4
        .value_kind:     by_value
      - .offset:         8
        .size:           4
        .value_kind:     by_value
      - .offset:         12
        .size:           4
        .value_kind:     by_value
      - .offset:         16
        .size:           16
        .value_kind:     by_value
      - .actual_access:  read_only
        .address_space:  global
        .offset:         32
        .size:           8
        .value_kind:     global_buffer
      - .actual_access:  read_only
        .address_space:  global
        .offset:         40
        .size:           8
        .value_kind:     global_buffer
      - .actual_access:  read_only
        .address_space:  global
        .offset:         48
        .size:           8
        .value_kind:     global_buffer
      - .offset:         56
        .size:           4
        .value_kind:     by_value
      - .offset:         60
        .size:           4
        .value_kind:     by_value
      - .actual_access:  read_only
        .address_space:  global
        .offset:         64
        .size:           8
        .value_kind:     global_buffer
      - .offset:         72
        .size:           8
        .value_kind:     by_value
      - .offset:         80
        .size:           16
        .value_kind:     by_value
      - .address_space:  global
        .offset:         96
        .size:           8
        .value_kind:     global_buffer
      - .offset:         104
        .size:           8
        .value_kind:     by_value
      - .offset:         112
        .size:           4
        .value_kind:     by_value
      - .offset:         116
        .size:           1
        .value_kind:     by_value
    .group_segment_fixed_size: 1088
    .kernarg_segment_align: 8
    .kernarg_segment_size: 120
    .language:       OpenCL C
    .language_version:
      - 2
      - 0
    .max_flat_workgroup_size: 32
    .name:           _ZN9rocsparseL29gebsrmm_small_blockdim_kernelILi2ELi1ELi2ELi16E21rocsparse_complex_numIdEEEv20rocsparse_direction_20rocsparse_operation_iiNS_24const_host_device_scalarIT3_EEPKiS9_PKS6_iiSB_lS7_PS6_l21rocsparse_index_base_b
    .private_segment_fixed_size: 0
    .sgpr_count:     40
    .sgpr_spill_count: 0
    .symbol:         _ZN9rocsparseL29gebsrmm_small_blockdim_kernelILi2ELi1ELi2ELi16E21rocsparse_complex_numIdEEEv20rocsparse_direction_20rocsparse_operation_iiNS_24const_host_device_scalarIT3_EEPKiS9_PKS6_iiSB_lS7_PS6_l21rocsparse_index_base_b.kd
    .uniform_work_group_size: 1
    .uses_dynamic_stack: false
    .vgpr_count:     38
    .vgpr_spill_count: 0
    .wavefront_size: 64
  - .agpr_count:     0
    .args:
      - .offset:         0
        .size:           4
        .value_kind:     by_value
      - .offset:         4
        .size:           4
        .value_kind:     by_value
      - .offset:         8
        .size:           4
        .value_kind:     by_value
      - .offset:         12
        .size:           4
        .value_kind:     by_value
      - .offset:         16
        .size:           16
        .value_kind:     by_value
      - .actual_access:  read_only
        .address_space:  global
        .offset:         32
        .size:           8
        .value_kind:     global_buffer
      - .actual_access:  read_only
        .address_space:  global
        .offset:         40
        .size:           8
        .value_kind:     global_buffer
      - .actual_access:  read_only
        .address_space:  global
        .offset:         48
        .size:           8
        .value_kind:     global_buffer
      - .offset:         56
        .size:           4
        .value_kind:     by_value
      - .offset:         60
        .size:           4
        .value_kind:     by_value
      - .actual_access:  read_only
        .address_space:  global
        .offset:         64
        .size:           8
        .value_kind:     global_buffer
      - .offset:         72
        .size:           8
        .value_kind:     by_value
      - .offset:         80
        .size:           16
        .value_kind:     by_value
      - .address_space:  global
        .offset:         96
        .size:           8
        .value_kind:     global_buffer
      - .offset:         104
        .size:           8
        .value_kind:     by_value
      - .offset:         112
        .size:           4
        .value_kind:     by_value
      - .offset:         116
        .size:           1
        .value_kind:     by_value
    .group_segment_fixed_size: 1680
    .kernarg_segment_align: 8
    .kernarg_segment_size: 120
    .language:       OpenCL C
    .language_version:
      - 2
      - 0
    .max_flat_workgroup_size: 48
    .name:           _ZN9rocsparseL29gebsrmm_small_blockdim_kernelILi2ELi3ELi3ELi16E21rocsparse_complex_numIdEEEv20rocsparse_direction_20rocsparse_operation_iiNS_24const_host_device_scalarIT3_EEPKiS9_PKS6_iiSB_lS7_PS6_l21rocsparse_index_base_b
    .private_segment_fixed_size: 0
    .sgpr_count:     42
    .sgpr_spill_count: 0
    .symbol:         _ZN9rocsparseL29gebsrmm_small_blockdim_kernelILi2ELi3ELi3ELi16E21rocsparse_complex_numIdEEEv20rocsparse_direction_20rocsparse_operation_iiNS_24const_host_device_scalarIT3_EEPKiS9_PKS6_iiSB_lS7_PS6_l21rocsparse_index_base_b.kd
    .uniform_work_group_size: 1
    .uses_dynamic_stack: false
    .vgpr_count:     54
    .vgpr_spill_count: 0
    .wavefront_size: 64
  - .agpr_count:     0
    .args:
      - .offset:         0
        .size:           4
        .value_kind:     by_value
      - .offset:         4
        .size:           4
        .value_kind:     by_value
      - .offset:         8
        .size:           4
        .value_kind:     by_value
      - .offset:         12
        .size:           4
        .value_kind:     by_value
      - .offset:         16
        .size:           16
        .value_kind:     by_value
      - .actual_access:  read_only
        .address_space:  global
        .offset:         32
        .size:           8
        .value_kind:     global_buffer
      - .actual_access:  read_only
        .address_space:  global
        .offset:         40
        .size:           8
        .value_kind:     global_buffer
      - .actual_access:  read_only
        .address_space:  global
        .offset:         48
        .size:           8
        .value_kind:     global_buffer
      - .offset:         56
        .size:           4
        .value_kind:     by_value
      - .offset:         60
        .size:           4
        .value_kind:     by_value
      - .actual_access:  read_only
        .address_space:  global
        .offset:         64
        .size:           8
        .value_kind:     global_buffer
      - .offset:         72
        .size:           8
        .value_kind:     by_value
      - .offset:         80
        .size:           16
        .value_kind:     by_value
      - .address_space:  global
        .offset:         96
        .size:           8
        .value_kind:     global_buffer
      - .offset:         104
        .size:           8
        .value_kind:     by_value
      - .offset:         112
        .size:           4
        .value_kind:     by_value
      - .offset:         116
        .size:           1
        .value_kind:     by_value
    .group_segment_fixed_size: 1792
    .kernarg_segment_align: 8
    .kernarg_segment_size: 120
    .language:       OpenCL C
    .language_version:
      - 2
      - 0
    .max_flat_workgroup_size: 64
    .name:           _ZN9rocsparseL29gebsrmm_small_blockdim_kernelILi2ELi4ELi4ELi16E21rocsparse_complex_numIdEEEv20rocsparse_direction_20rocsparse_operation_iiNS_24const_host_device_scalarIT3_EEPKiS9_PKS6_iiSB_lS7_PS6_l21rocsparse_index_base_b
    .private_segment_fixed_size: 16
    .sgpr_count:     46
    .sgpr_spill_count: 0
    .symbol:         _ZN9rocsparseL29gebsrmm_small_blockdim_kernelILi2ELi4ELi4ELi16E21rocsparse_complex_numIdEEEv20rocsparse_direction_20rocsparse_operation_iiNS_24const_host_device_scalarIT3_EEPKiS9_PKS6_iiSB_lS7_PS6_l21rocsparse_index_base_b.kd
    .uniform_work_group_size: 1
    .uses_dynamic_stack: false
    .vgpr_count:     54
    .vgpr_spill_count: 0
    .wavefront_size: 64
  - .agpr_count:     0
    .args:
      - .offset:         0
        .size:           4
        .value_kind:     by_value
      - .offset:         4
        .size:           4
        .value_kind:     by_value
      - .offset:         8
        .size:           4
        .value_kind:     by_value
      - .offset:         12
        .size:           4
        .value_kind:     by_value
      - .offset:         16
        .size:           16
        .value_kind:     by_value
      - .actual_access:  read_only
        .address_space:  global
        .offset:         32
        .size:           8
        .value_kind:     global_buffer
      - .actual_access:  read_only
        .address_space:  global
        .offset:         40
        .size:           8
        .value_kind:     global_buffer
      - .actual_access:  read_only
        .address_space:  global
        .offset:         48
        .size:           8
        .value_kind:     global_buffer
      - .offset:         56
        .size:           4
        .value_kind:     by_value
      - .offset:         60
        .size:           4
        .value_kind:     by_value
      - .actual_access:  read_only
        .address_space:  global
        .offset:         64
        .size:           8
        .value_kind:     global_buffer
      - .offset:         72
        .size:           8
        .value_kind:     by_value
      - .offset:         80
        .size:           16
        .value_kind:     by_value
      - .address_space:  global
        .offset:         96
        .size:           8
        .value_kind:     global_buffer
      - .offset:         104
        .size:           8
        .value_kind:     by_value
      - .offset:         112
        .size:           4
        .value_kind:     by_value
      - .offset:         116
        .size:           1
        .value_kind:     by_value
    .group_segment_fixed_size: 1680
    .kernarg_segment_align: 8
    .kernarg_segment_size: 120
    .language:       OpenCL C
    .language_version:
      - 2
      - 0
    .max_flat_workgroup_size: 48
    .name:           _ZN9rocsparseL29gebsrmm_small_blockdim_kernelILi3ELi1ELi3ELi16E21rocsparse_complex_numIdEEEv20rocsparse_direction_20rocsparse_operation_iiNS_24const_host_device_scalarIT3_EEPKiS9_PKS6_iiSB_lS7_PS6_l21rocsparse_index_base_b
    .private_segment_fixed_size: 0
    .sgpr_count:     40
    .sgpr_spill_count: 0
    .symbol:         _ZN9rocsparseL29gebsrmm_small_blockdim_kernelILi3ELi1ELi3ELi16E21rocsparse_complex_numIdEEEv20rocsparse_direction_20rocsparse_operation_iiNS_24const_host_device_scalarIT3_EEPKiS9_PKS6_iiSB_lS7_PS6_l21rocsparse_index_base_b.kd
    .uniform_work_group_size: 1
    .uses_dynamic_stack: false
    .vgpr_count:     38
    .vgpr_spill_count: 0
    .wavefront_size: 64
  - .agpr_count:     0
    .args:
      - .offset:         0
        .size:           4
        .value_kind:     by_value
      - .offset:         4
        .size:           4
        .value_kind:     by_value
      - .offset:         8
        .size:           4
        .value_kind:     by_value
      - .offset:         12
        .size:           4
        .value_kind:     by_value
      - .offset:         16
        .size:           16
        .value_kind:     by_value
      - .actual_access:  read_only
        .address_space:  global
        .offset:         32
        .size:           8
        .value_kind:     global_buffer
      - .actual_access:  read_only
        .address_space:  global
        .offset:         40
        .size:           8
        .value_kind:     global_buffer
      - .actual_access:  read_only
        .address_space:  global
        .offset:         48
        .size:           8
        .value_kind:     global_buffer
      - .offset:         56
        .size:           4
        .value_kind:     by_value
      - .offset:         60
        .size:           4
        .value_kind:     by_value
      - .actual_access:  read_only
        .address_space:  global
        .offset:         64
        .size:           8
        .value_kind:     global_buffer
      - .offset:         72
        .size:           8
        .value_kind:     by_value
      - .offset:         80
        .size:           16
        .value_kind:     by_value
      - .address_space:  global
        .offset:         96
        .size:           8
        .value_kind:     global_buffer
      - .offset:         104
        .size:           8
        .value_kind:     by_value
      - .offset:         112
        .size:           4
        .value_kind:     by_value
      - .offset:         116
        .size:           1
        .value_kind:     by_value
    .group_segment_fixed_size: 1680
    .kernarg_segment_align: 8
    .kernarg_segment_size: 120
    .language:       OpenCL C
    .language_version:
      - 2
      - 0
    .max_flat_workgroup_size: 48
    .name:           _ZN9rocsparseL29gebsrmm_small_blockdim_kernelILi3ELi2ELi3ELi16E21rocsparse_complex_numIdEEEv20rocsparse_direction_20rocsparse_operation_iiNS_24const_host_device_scalarIT3_EEPKiS9_PKS6_iiSB_lS7_PS6_l21rocsparse_index_base_b
    .private_segment_fixed_size: 0
    .sgpr_count:     42
    .sgpr_spill_count: 0
    .symbol:         _ZN9rocsparseL29gebsrmm_small_blockdim_kernelILi3ELi2ELi3ELi16E21rocsparse_complex_numIdEEEv20rocsparse_direction_20rocsparse_operation_iiNS_24const_host_device_scalarIT3_EEPKiS9_PKS6_iiSB_lS7_PS6_l21rocsparse_index_base_b.kd
    .uniform_work_group_size: 1
    .uses_dynamic_stack: false
    .vgpr_count:     46
    .vgpr_spill_count: 0
    .wavefront_size: 64
  - .agpr_count:     0
    .args:
      - .offset:         0
        .size:           4
        .value_kind:     by_value
      - .offset:         4
        .size:           4
        .value_kind:     by_value
      - .offset:         8
        .size:           4
        .value_kind:     by_value
      - .offset:         12
        .size:           4
        .value_kind:     by_value
      - .offset:         16
        .size:           16
        .value_kind:     by_value
      - .actual_access:  read_only
        .address_space:  global
        .offset:         32
        .size:           8
        .value_kind:     global_buffer
      - .actual_access:  read_only
        .address_space:  global
        .offset:         40
        .size:           8
        .value_kind:     global_buffer
      - .actual_access:  read_only
        .address_space:  global
        .offset:         48
        .size:           8
        .value_kind:     global_buffer
      - .offset:         56
        .size:           4
        .value_kind:     by_value
      - .offset:         60
        .size:           4
        .value_kind:     by_value
      - .actual_access:  read_only
        .address_space:  global
        .offset:         64
        .size:           8
        .value_kind:     global_buffer
      - .offset:         72
        .size:           8
        .value_kind:     by_value
      - .offset:         80
        .size:           16
        .value_kind:     by_value
      - .address_space:  global
        .offset:         96
        .size:           8
        .value_kind:     global_buffer
      - .offset:         104
        .size:           8
        .value_kind:     by_value
      - .offset:         112
        .size:           4
        .value_kind:     by_value
      - .offset:         116
        .size:           1
        .value_kind:     by_value
    .group_segment_fixed_size: 1792
    .kernarg_segment_align: 8
    .kernarg_segment_size: 120
    .language:       OpenCL C
    .language_version:
      - 2
      - 0
    .max_flat_workgroup_size: 64
    .name:           _ZN9rocsparseL29gebsrmm_small_blockdim_kernelILi3ELi4ELi4ELi16E21rocsparse_complex_numIdEEEv20rocsparse_direction_20rocsparse_operation_iiNS_24const_host_device_scalarIT3_EEPKiS9_PKS6_iiSB_lS7_PS6_l21rocsparse_index_base_b
    .private_segment_fixed_size: 16
    .sgpr_count:     48
    .sgpr_spill_count: 0
    .symbol:         _ZN9rocsparseL29gebsrmm_small_blockdim_kernelILi3ELi4ELi4ELi16E21rocsparse_complex_numIdEEEv20rocsparse_direction_20rocsparse_operation_iiNS_24const_host_device_scalarIT3_EEPKiS9_PKS6_iiSB_lS7_PS6_l21rocsparse_index_base_b.kd
    .uniform_work_group_size: 1
    .uses_dynamic_stack: false
    .vgpr_count:     54
    .vgpr_spill_count: 0
    .wavefront_size: 64
  - .agpr_count:     0
    .args:
      - .offset:         0
        .size:           4
        .value_kind:     by_value
      - .offset:         4
        .size:           4
        .value_kind:     by_value
      - .offset:         8
        .size:           4
        .value_kind:     by_value
      - .offset:         12
        .size:           4
        .value_kind:     by_value
      - .offset:         16
        .size:           16
        .value_kind:     by_value
      - .actual_access:  read_only
        .address_space:  global
        .offset:         32
        .size:           8
        .value_kind:     global_buffer
      - .actual_access:  read_only
        .address_space:  global
        .offset:         40
        .size:           8
        .value_kind:     global_buffer
      - .actual_access:  read_only
        .address_space:  global
        .offset:         48
        .size:           8
        .value_kind:     global_buffer
      - .offset:         56
        .size:           4
        .value_kind:     by_value
      - .offset:         60
        .size:           4
        .value_kind:     by_value
      - .actual_access:  read_only
        .address_space:  global
        .offset:         64
        .size:           8
        .value_kind:     global_buffer
      - .offset:         72
        .size:           8
        .value_kind:     by_value
      - .offset:         80
        .size:           16
        .value_kind:     by_value
      - .address_space:  global
        .offset:         96
        .size:           8
        .value_kind:     global_buffer
      - .offset:         104
        .size:           8
        .value_kind:     by_value
      - .offset:         112
        .size:           4
        .value_kind:     by_value
      - .offset:         116
        .size:           1
        .value_kind:     by_value
    .group_segment_fixed_size: 1792
    .kernarg_segment_align: 8
    .kernarg_segment_size: 120
    .language:       OpenCL C
    .language_version:
      - 2
      - 0
    .max_flat_workgroup_size: 64
    .name:           _ZN9rocsparseL29gebsrmm_small_blockdim_kernelILi4ELi1ELi4ELi16E21rocsparse_complex_numIdEEEv20rocsparse_direction_20rocsparse_operation_iiNS_24const_host_device_scalarIT3_EEPKiS9_PKS6_iiSB_lS7_PS6_l21rocsparse_index_base_b
    .private_segment_fixed_size: 16
    .sgpr_count:     46
    .sgpr_spill_count: 0
    .symbol:         _ZN9rocsparseL29gebsrmm_small_blockdim_kernelILi4ELi1ELi4ELi16E21rocsparse_complex_numIdEEEv20rocsparse_direction_20rocsparse_operation_iiNS_24const_host_device_scalarIT3_EEPKiS9_PKS6_iiSB_lS7_PS6_l21rocsparse_index_base_b.kd
    .uniform_work_group_size: 1
    .uses_dynamic_stack: false
    .vgpr_count:     38
    .vgpr_spill_count: 0
    .wavefront_size: 64
  - .agpr_count:     0
    .args:
      - .offset:         0
        .size:           4
        .value_kind:     by_value
      - .offset:         4
        .size:           4
        .value_kind:     by_value
      - .offset:         8
        .size:           4
        .value_kind:     by_value
      - .offset:         12
        .size:           4
        .value_kind:     by_value
      - .offset:         16
        .size:           16
        .value_kind:     by_value
      - .actual_access:  read_only
        .address_space:  global
        .offset:         32
        .size:           8
        .value_kind:     global_buffer
      - .actual_access:  read_only
        .address_space:  global
        .offset:         40
        .size:           8
        .value_kind:     global_buffer
      - .actual_access:  read_only
        .address_space:  global
        .offset:         48
        .size:           8
        .value_kind:     global_buffer
      - .offset:         56
        .size:           4
        .value_kind:     by_value
      - .offset:         60
        .size:           4
        .value_kind:     by_value
      - .actual_access:  read_only
        .address_space:  global
        .offset:         64
        .size:           8
        .value_kind:     global_buffer
      - .offset:         72
        .size:           8
        .value_kind:     by_value
      - .offset:         80
        .size:           16
        .value_kind:     by_value
      - .address_space:  global
        .offset:         96
        .size:           8
        .value_kind:     global_buffer
      - .offset:         104
        .size:           8
        .value_kind:     by_value
      - .offset:         112
        .size:           4
        .value_kind:     by_value
      - .offset:         116
        .size:           1
        .value_kind:     by_value
    .group_segment_fixed_size: 1792
    .kernarg_segment_align: 8
    .kernarg_segment_size: 120
    .language:       OpenCL C
    .language_version:
      - 2
      - 0
    .max_flat_workgroup_size: 64
    .name:           _ZN9rocsparseL29gebsrmm_small_blockdim_kernelILi4ELi2ELi4ELi16E21rocsparse_complex_numIdEEEv20rocsparse_direction_20rocsparse_operation_iiNS_24const_host_device_scalarIT3_EEPKiS9_PKS6_iiSB_lS7_PS6_l21rocsparse_index_base_b
    .private_segment_fixed_size: 16
    .sgpr_count:     46
    .sgpr_spill_count: 0
    .symbol:         _ZN9rocsparseL29gebsrmm_small_blockdim_kernelILi4ELi2ELi4ELi16E21rocsparse_complex_numIdEEEv20rocsparse_direction_20rocsparse_operation_iiNS_24const_host_device_scalarIT3_EEPKiS9_PKS6_iiSB_lS7_PS6_l21rocsparse_index_base_b.kd
    .uniform_work_group_size: 1
    .uses_dynamic_stack: false
    .vgpr_count:     46
    .vgpr_spill_count: 0
    .wavefront_size: 64
  - .agpr_count:     0
    .args:
      - .offset:         0
        .size:           4
        .value_kind:     by_value
      - .offset:         4
        .size:           4
        .value_kind:     by_value
      - .offset:         8
        .size:           4
        .value_kind:     by_value
      - .offset:         12
        .size:           4
        .value_kind:     by_value
      - .offset:         16
        .size:           16
        .value_kind:     by_value
      - .actual_access:  read_only
        .address_space:  global
        .offset:         32
        .size:           8
        .value_kind:     global_buffer
      - .actual_access:  read_only
        .address_space:  global
        .offset:         40
        .size:           8
        .value_kind:     global_buffer
      - .actual_access:  read_only
        .address_space:  global
        .offset:         48
        .size:           8
        .value_kind:     global_buffer
      - .offset:         56
        .size:           4
        .value_kind:     by_value
      - .offset:         60
        .size:           4
        .value_kind:     by_value
      - .actual_access:  read_only
        .address_space:  global
        .offset:         64
        .size:           8
        .value_kind:     global_buffer
      - .offset:         72
        .size:           8
        .value_kind:     by_value
      - .offset:         80
        .size:           16
        .value_kind:     by_value
      - .address_space:  global
        .offset:         96
        .size:           8
        .value_kind:     global_buffer
      - .offset:         104
        .size:           8
        .value_kind:     by_value
      - .offset:         112
        .size:           4
        .value_kind:     by_value
      - .offset:         116
        .size:           1
        .value_kind:     by_value
    .group_segment_fixed_size: 1792
    .kernarg_segment_align: 8
    .kernarg_segment_size: 120
    .language:       OpenCL C
    .language_version:
      - 2
      - 0
    .max_flat_workgroup_size: 64
    .name:           _ZN9rocsparseL29gebsrmm_small_blockdim_kernelILi4ELi3ELi4ELi16E21rocsparse_complex_numIdEEEv20rocsparse_direction_20rocsparse_operation_iiNS_24const_host_device_scalarIT3_EEPKiS9_PKS6_iiSB_lS7_PS6_l21rocsparse_index_base_b
    .private_segment_fixed_size: 16
    .sgpr_count:     48
    .sgpr_spill_count: 0
    .symbol:         _ZN9rocsparseL29gebsrmm_small_blockdim_kernelILi4ELi3ELi4ELi16E21rocsparse_complex_numIdEEEv20rocsparse_direction_20rocsparse_operation_iiNS_24const_host_device_scalarIT3_EEPKiS9_PKS6_iiSB_lS7_PS6_l21rocsparse_index_base_b.kd
    .uniform_work_group_size: 1
    .uses_dynamic_stack: false
    .vgpr_count:     54
    .vgpr_spill_count: 0
    .wavefront_size: 64
amdhsa.target:   amdgcn-amd-amdhsa--gfx90a
amdhsa.version:
  - 1
  - 2
...

	.end_amdgpu_metadata
